;; amdgpu-corpus repo=ROCm/rocFFT kind=compiled arch=gfx1201 opt=O3
	.text
	.amdgcn_target "amdgcn-amd-amdhsa--gfx1201"
	.amdhsa_code_object_version 6
	.protected	bluestein_single_back_len1170_dim1_dp_op_CI_CI ; -- Begin function bluestein_single_back_len1170_dim1_dp_op_CI_CI
	.globl	bluestein_single_back_len1170_dim1_dp_op_CI_CI
	.p2align	8
	.type	bluestein_single_back_len1170_dim1_dp_op_CI_CI,@function
bluestein_single_back_len1170_dim1_dp_op_CI_CI: ; @bluestein_single_back_len1170_dim1_dp_op_CI_CI
; %bb.0:
	s_load_b128 s[16:19], s[0:1], 0x28
	v_mul_u32_u24_e32 v1, 0x231, v0
	s_mov_b32 s2, exec_lo
	v_mov_b32_e32 v6, 0
	s_delay_alu instid0(VALU_DEP_2) | instskip(NEXT) | instid1(VALU_DEP_1)
	v_lshrrev_b32_e32 v1, 16, v1
	v_add_nc_u32_e32 v5, ttmp9, v1
	s_wait_kmcnt 0x0
	s_delay_alu instid0(VALU_DEP_1)
	v_cmpx_gt_u64_e64 s[16:17], v[5:6]
	s_cbranch_execz .LBB0_26
; %bb.1:
	s_clause 0x1
	s_load_b128 s[4:7], s[0:1], 0x18
	s_load_b128 s[8:11], s[0:1], 0x0
	v_mul_lo_u16 v1, 0x75, v1
	v_mov_b32_e32 v6, v5
	s_delay_alu instid0(VALU_DEP_2) | instskip(SKIP_2) | instid1(VALU_DEP_1)
	v_sub_nc_u16 v0, v0, v1
	scratch_store_b64 off, v[6:7], off offset:20 ; 8-byte Folded Spill
	v_and_b32_e32 v109, 0xffff, v0
	v_lshlrev_b32_e32 v236, 4, v109
	s_wait_kmcnt 0x0
	s_load_b128 s[12:15], s[4:5], 0x0
	s_movk_i32 s4, 0xe2c0
	s_mov_b32 s5, -1
	s_clause 0x7
	global_load_b128 v[81:84], v236, s[8:9] offset:9360
	global_load_b128 v[85:88], v236, s[8:9]
	global_load_b128 v[89:92], v236, s[8:9] offset:1872
	global_load_b128 v[93:96], v236, s[8:9] offset:11232
	;; [unrolled: 1-line block ×6, first 2 shown]
	s_wait_kmcnt 0x0
	v_mad_co_u64_u32 v[1:2], null, s14, v5, 0
	v_mad_co_u64_u32 v[3:4], null, s12, v109, 0
	s_mul_u64 s[2:3], s[12:13], 0x2490
	s_mul_u64 s[4:5], s[12:13], s[4:5]
	s_delay_alu instid0(VALU_DEP_1) | instskip(NEXT) | instid1(VALU_DEP_1)
	v_mad_co_u64_u32 v[5:6], null, s15, v5, v[2:3]
	v_mad_co_u64_u32 v[6:7], null, s13, v109, v[4:5]
	v_mov_b32_e32 v2, v5
	s_delay_alu instid0(VALU_DEP_1) | instskip(NEXT) | instid1(VALU_DEP_3)
	v_lshlrev_b64_e32 v[1:2], 4, v[1:2]
	v_mov_b32_e32 v4, v6
	s_delay_alu instid0(VALU_DEP_2) | instskip(NEXT) | instid1(VALU_DEP_2)
	v_add_co_u32 v1, vcc_lo, s18, v1
	v_lshlrev_b64_e32 v[3:4], 4, v[3:4]
	s_delay_alu instid0(VALU_DEP_4) | instskip(NEXT) | instid1(VALU_DEP_2)
	v_add_co_ci_u32_e32 v2, vcc_lo, s19, v2, vcc_lo
	v_add_co_u32 v1, vcc_lo, v1, v3
	s_wait_alu 0xfffd
	s_delay_alu instid0(VALU_DEP_2) | instskip(NEXT) | instid1(VALU_DEP_2)
	v_add_co_ci_u32_e32 v2, vcc_lo, v2, v4, vcc_lo
	v_add_co_u32 v5, vcc_lo, v1, s2
	s_wait_alu 0xfffd
	s_delay_alu instid0(VALU_DEP_2) | instskip(NEXT) | instid1(VALU_DEP_2)
	v_add_co_ci_u32_e32 v6, vcc_lo, s3, v2, vcc_lo
	v_add_co_u32 v9, vcc_lo, v5, s4
	s_wait_alu 0xfffd
	s_delay_alu instid0(VALU_DEP_2)
	v_add_co_ci_u32_e32 v10, vcc_lo, s5, v6, vcc_lo
	s_clause 0x1
	global_load_b128 v[1:4], v[1:2], off
	global_load_b128 v[5:8], v[5:6], off
	v_add_co_u32 v13, vcc_lo, v9, s2
	s_wait_alu 0xfffd
	v_add_co_ci_u32_e32 v14, vcc_lo, s3, v10, vcc_lo
	s_delay_alu instid0(VALU_DEP_2) | instskip(SKIP_1) | instid1(VALU_DEP_2)
	v_add_co_u32 v17, vcc_lo, v13, s4
	s_wait_alu 0xfffd
	v_add_co_ci_u32_e32 v18, vcc_lo, s5, v14, vcc_lo
	s_clause 0x1
	global_load_b128 v[9:12], v[9:10], off
	global_load_b128 v[13:16], v[13:14], off
	v_add_co_u32 v21, vcc_lo, v17, s2
	s_wait_alu 0xfffd
	v_add_co_ci_u32_e32 v22, vcc_lo, s3, v18, vcc_lo
	global_load_b128 v[17:20], v[17:18], off
	v_add_co_u32 v25, vcc_lo, v21, s4
	s_wait_alu 0xfffd
	v_add_co_ci_u32_e32 v26, vcc_lo, s5, v22, vcc_lo
	;; [unrolled: 4-line block ×4, first 2 shown]
	s_delay_alu instid0(VALU_DEP_2) | instskip(SKIP_1) | instid1(VALU_DEP_2)
	v_add_co_u32 v37, vcc_lo, v33, s2
	s_wait_alu 0xfffd
	v_add_co_ci_u32_e32 v38, vcc_lo, s3, v34, vcc_lo
	global_load_b128 v[29:32], v[29:30], off
	global_load_b128 v[114:117], v236, s[8:9] offset:7488
	global_load_b128 v[33:36], v[33:34], off
	global_load_b128 v[118:121], v236, s[8:9] offset:16848
	global_load_b128 v[37:40], v[37:38], off
	s_load_b128 s[4:7], s[6:7], 0x0
	s_load_b64 s[2:3], s[0:1], 0x38
	v_add_co_u32 v255, s1, 0x75, v109
	v_cmp_gt_u16_e64 s0, 0x5a, v0
	s_wait_alu 0xf1ff
	v_add_co_ci_u32_e64 v0, null, 0, 0, s1
	s_wait_loadcnt 0x13
	scratch_store_b128 off, v[81:84], off offset:28 ; 16-byte Folded Spill
	s_wait_loadcnt 0x12
	scratch_store_b128 off, v[85:88], off offset:44 ; 16-byte Folded Spill
	;; [unrolled: 2-line block ×4, first 2 shown]
	s_wait_loadcnt 0xe
	s_clause 0x1
	scratch_store_b128 off, v[101:104], off offset:108
	scratch_store_b128 off, v[97:100], off offset:92
	s_wait_loadcnt 0xd
	scratch_store_b128 off, v[105:108], off offset:124 ; 16-byte Folded Spill
	s_wait_loadcnt 0xc
	scratch_store_b128 off, v[110:113], off offset:140 ; 16-byte Folded Spill
	s_wait_loadcnt 0xb
	v_mul_f64_e32 v[41:42], v[3:4], v[87:88]
	v_mul_f64_e32 v[43:44], v[1:2], v[87:88]
	s_wait_loadcnt 0xa
	v_mul_f64_e32 v[45:46], v[7:8], v[83:84]
	v_mul_f64_e32 v[47:48], v[5:6], v[83:84]
	;; [unrolled: 3-line block ×7, first 2 shown]
	v_add_co_u32 v108, s1, 0xea, v109
	s_wait_alu 0xf1ff
	v_add_co_ci_u32_e64 v0, null, 0, 0, s1
	s_wait_loadcnt 0x4
	v_mul_f64_e32 v[69:70], v[31:32], v[112:113]
	v_mul_f64_e32 v[71:72], v[29:30], v[112:113]
	s_wait_loadcnt 0x2
	v_mul_f64_e32 v[73:74], v[35:36], v[116:117]
	v_mul_f64_e32 v[75:76], v[33:34], v[116:117]
	s_wait_loadcnt 0x0
	v_mul_f64_e32 v[77:78], v[39:40], v[120:121]
	v_mul_f64_e32 v[79:80], v[37:38], v[120:121]
	v_fma_f64 v[1:2], v[1:2], v[85:86], v[41:42]
	v_fma_f64 v[3:4], v[3:4], v[85:86], -v[43:44]
	v_fma_f64 v[5:6], v[5:6], v[81:82], v[45:46]
	v_fma_f64 v[7:8], v[7:8], v[81:82], -v[47:48]
	s_clause 0x1
	scratch_store_b128 off, v[114:117], off offset:156
	scratch_store_b128 off, v[118:121], off offset:172
	v_fma_f64 v[9:10], v[9:10], v[89:90], v[49:50]
	v_fma_f64 v[11:12], v[11:12], v[89:90], -v[51:52]
	v_fma_f64 v[13:14], v[13:14], v[93:94], v[53:54]
	v_fma_f64 v[15:16], v[15:16], v[93:94], -v[55:56]
	;; [unrolled: 2-line block ×4, first 2 shown]
                                        ; implicit-def: $vgpr60_vgpr61
	v_fma_f64 v[25:26], v[25:26], v[105:106], v[65:66]
	v_fma_f64 v[27:28], v[27:28], v[105:106], -v[67:68]
                                        ; implicit-def: $vgpr104_vgpr105
                                        ; implicit-def: $vgpr64_vgpr65
	v_fma_f64 v[29:30], v[29:30], v[110:111], v[69:70]
	v_fma_f64 v[31:32], v[31:32], v[110:111], -v[71:72]
	v_fma_f64 v[33:34], v[33:34], v[114:115], v[73:74]
	v_fma_f64 v[35:36], v[35:36], v[114:115], -v[75:76]
	;; [unrolled: 2-line block ×3, first 2 shown]
	v_add_co_u32 v119, s1, 0x15f, v109
	s_wait_alu 0xf1ff
	v_add_co_ci_u32_e64 v0, null, 0, 0, s1
	ds_store_b128 v236, v[1:4]
	ds_store_b128 v236, v[9:12] offset:1872
	ds_store_b128 v236, v[13:16] offset:11232
	;; [unrolled: 1-line block ×9, first 2 shown]
	global_wb scope:SCOPE_SE
	s_wait_storecnt_dscnt 0x0
	s_wait_kmcnt 0x0
	s_barrier_signal -1
	s_barrier_wait -1
	global_inv scope:SCOPE_SE
	ds_load_b128 v[1:4], v236 offset:9360
	ds_load_b128 v[5:8], v236
	ds_load_b128 v[9:12], v236 offset:1872
	ds_load_b128 v[13:16], v236 offset:11232
	;; [unrolled: 1-line block ×8, first 2 shown]
	scratch_store_b32 off, v0, off offset:212 ; 4-byte Folded Spill
	v_lshlrev_b32_e32 v0, 5, v119
	global_wb scope:SCOPE_SE
	s_wait_storecnt_dscnt 0x0
	s_barrier_signal -1
	s_barrier_wait -1
	global_inv scope:SCOPE_SE
	v_add_f64_e64 v[44:45], v[5:6], -v[1:2]
	v_add_f64_e64 v[46:47], v[7:8], -v[3:4]
	;; [unrolled: 1-line block ×10, first 2 shown]
	v_lshlrev_b32_e32 v3, 5, v109
	v_lshlrev_b32_e32 v2, 5, v255
	;; [unrolled: 1-line block ×3, first 2 shown]
	v_fma_f64 v[88:89], v[5:6], 2.0, -v[44:45]
	v_fma_f64 v[90:91], v[7:8], 2.0, -v[46:47]
	v_fma_f64 v[56:57], v[9:10], 2.0, -v[52:53]
	v_fma_f64 v[58:59], v[11:12], 2.0, -v[54:55]
	v_fma_f64 v[48:49], v[21:22], 2.0, -v[72:73]
	v_fma_f64 v[50:51], v[23:24], 2.0, -v[74:75]
	v_fma_f64 v[96:97], v[25:26], 2.0, -v[92:93]
	v_fma_f64 v[98:99], v[27:28], 2.0, -v[94:95]
	v_fma_f64 v[100:101], v[33:34], 2.0, -v[80:81]
	v_fma_f64 v[102:103], v[35:36], 2.0, -v[82:83]
	ds_store_b128 v3, v[88:91]
	ds_store_b128 v3, v[44:47] offset:16
	ds_store_b128 v2, v[56:59]
	scratch_store_b32 off, v2, off offset:204 ; 4-byte Folded Spill
	ds_store_b128 v2, v[52:55] offset:16
	ds_store_b128 v1, v[48:51]
	scratch_store_b32 off, v1, off          ; 4-byte Folded Spill
	ds_store_b128 v1, v[72:75] offset:16
	ds_store_b128 v0, v[96:99]
	scratch_store_b32 off, v0, off offset:196 ; 4-byte Folded Spill
	ds_store_b128 v0, v[92:95] offset:16
	ds_store_b128 v3, v[100:103] offset:14976
	scratch_store_b32 off, v3, off offset:8 ; 4-byte Folded Spill
	ds_store_b128 v3, v[80:83] offset:14992
	global_wb scope:SCOPE_SE
	s_wait_storecnt_dscnt 0x0
	s_barrier_signal -1
	s_barrier_wait -1
	global_inv scope:SCOPE_SE
	s_and_saveexec_b32 s1, s0
	s_cbranch_execz .LBB0_3
; %bb.2:
	ds_load_b128 v[88:91], v236
	ds_load_b128 v[44:47], v236 offset:1440
	ds_load_b128 v[56:59], v236 offset:2880
	;; [unrolled: 1-line block ×12, first 2 shown]
.LBB0_3:
	s_wait_alu 0xfffe
	s_or_b32 exec_lo, exec_lo, s1
	v_dual_mov_b32 v111, v109 :: v_dual_and_b32 v0, 1, v109
	s_mov_b32 s16, 0x4267c47c
	s_mov_b32 s17, 0xbfddbe06
	;; [unrolled: 1-line block ×3, first 2 shown]
	scratch_store_b32 off, v0, off offset:188 ; 4-byte Folded Spill
	v_mul_u32_u24_e32 v0, 12, v0
	s_mov_b32 s18, 0x42a4c3d2
	s_mov_b32 s15, 0x3fec55a7
	;; [unrolled: 1-line block ×4, first 2 shown]
	v_lshlrev_b32_e32 v2, 4, v0
	s_mov_b32 s13, 0x3fe22d96
	s_mov_b32 s22, 0x66966769
	;; [unrolled: 1-line block ×3, first 2 shown]
	s_clause 0x3
	global_load_b128 v[40:43], v2, s[10:11]
	global_load_b128 v[68:71], v2, s[10:11] offset:16
	global_load_b128 v[84:87], v2, s[10:11] offset:176
	global_load_b128 v[76:79], v2, s[10:11] offset:160
	s_mov_b32 s20, 0xebaa3ed8
	s_mov_b32 s21, 0x3fbedb7d
	;; [unrolled: 1-line block ×19, first 2 shown]
	s_wait_alu 0xfffe
	s_mov_b32 s36, s16
	s_mov_b32 s41, 0x3fedeba7
	;; [unrolled: 1-line block ×7, first 2 shown]
	s_wait_loadcnt_dscnt 0x30b
	v_mul_f64_e32 v[0:1], v[46:47], v[42:43]
	s_delay_alu instid0(VALU_DEP_1) | instskip(SKIP_1) | instid1(VALU_DEP_1)
	v_fma_f64 v[178:179], v[44:45], v[40:41], -v[0:1]
	v_mul_f64_e32 v[0:1], v[44:45], v[42:43]
	v_fma_f64 v[180:181], v[46:47], v[40:41], v[0:1]
	s_wait_loadcnt_dscnt 0x100
	v_mul_f64_e32 v[0:1], v[64:65], v[86:87]
	s_delay_alu instid0(VALU_DEP_1) | instskip(SKIP_1) | instid1(VALU_DEP_2)
	v_fma_f64 v[112:113], v[66:67], v[84:85], v[0:1]
	v_mul_f64_e32 v[0:1], v[66:67], v[86:87]
	v_add_f64_e64 v[241:242], v[180:181], -v[112:113]
	s_delay_alu instid0(VALU_DEP_2) | instskip(SKIP_2) | instid1(VALU_DEP_4)
	v_fma_f64 v[114:115], v[64:65], v[84:85], -v[0:1]
	v_mul_f64_e32 v[0:1], v[58:59], v[70:71]
	v_add_f64_e32 v[243:244], v[180:181], v[112:113]
	v_mul_f64_e32 v[239:240], s[16:17], v[241:242]
	s_delay_alu instid0(VALU_DEP_4) | instskip(NEXT) | instid1(VALU_DEP_4)
	v_add_f64_e32 v[237:238], v[178:179], v[114:115]
	v_fma_f64 v[134:135], v[56:57], v[68:69], -v[0:1]
	v_mul_f64_e32 v[0:1], v[56:57], v[70:71]
	v_add_f64_e64 v[247:248], v[178:179], -v[114:115]
	v_mul_f64_e32 v[249:250], s[18:19], v[241:242]
	v_mul_f64_e32 v[253:254], s[22:23], v[241:242]
	v_mul_f64_e32 v[154:155], s[28:29], v[241:242]
	v_fma_f64 v[172:173], v[58:59], v[68:69], v[0:1]
	s_wait_loadcnt 0x0
	v_mul_f64_e32 v[0:1], v[60:61], v[78:79]
	s_clause 0x1
	global_load_b128 v[56:59], v2, s[10:11] offset:32
	global_load_b128 v[44:47], v2, s[10:11] offset:48
	v_mul_f64_e32 v[245:246], s[16:17], v[247:248]
	v_mul_f64_e32 v[251:252], s[18:19], v[247:248]
	;; [unrolled: 1-line block ×4, first 2 shown]
	v_fma_f64 v[116:117], v[62:63], v[76:77], v[0:1]
	v_mul_f64_e32 v[0:1], v[62:63], v[78:79]
	s_delay_alu instid0(VALU_DEP_2) | instskip(NEXT) | instid1(VALU_DEP_2)
	v_add_f64_e64 v[164:165], v[172:173], -v[116:117]
	v_fma_f64 v[132:133], v[60:61], v[76:77], -v[0:1]
	s_clause 0x1
	global_load_b128 v[64:67], v2, s[10:11] offset:144
	global_load_b128 v[60:63], v2, s[10:11] offset:128
	v_add_f64_e32 v[152:153], v[172:173], v[116:117]
	v_mul_f64_e32 v[190:191], s[18:19], v[164:165]
	v_add_f64_e64 v[166:167], v[134:135], -v[132:133]
	s_delay_alu instid0(VALU_DEP_1) | instskip(SKIP_1) | instid1(VALU_DEP_2)
	v_mul_f64_e32 v[194:195], s[18:19], v[166:167]
	v_mul_f64_e32 v[6:7], s[28:29], v[166:167]
	v_fma_f64 v[4:5], v[152:153], s[12:13], -v[194:195]
	s_delay_alu instid0(VALU_DEP_2) | instskip(SKIP_2) | instid1(VALU_DEP_1)
	v_fma_f64 v[8:9], v[152:153], s[24:25], -v[6:7]
	s_wait_loadcnt 0x3
	v_mul_f64_e32 v[0:1], v[54:55], v[58:59]
	v_fma_f64 v[176:177], v[52:53], v[56:57], -v[0:1]
	v_mul_f64_e32 v[0:1], v[52:53], v[58:59]
	s_delay_alu instid0(VALU_DEP_1) | instskip(SKIP_2) | instid1(VALU_DEP_1)
	v_fma_f64 v[186:187], v[54:55], v[56:57], v[0:1]
	s_wait_loadcnt 0x1
	v_mul_f64_e32 v[0:1], v[106:107], v[66:67]
	v_fma_f64 v[136:137], v[104:105], v[64:65], -v[0:1]
	v_mul_f64_e32 v[0:1], v[104:105], v[66:67]
	s_delay_alu instid0(VALU_DEP_2) | instskip(NEXT) | instid1(VALU_DEP_2)
	v_add_f64_e32 v[156:157], v[176:177], v[136:137]
	v_fma_f64 v[104:105], v[106:107], v[64:65], v[0:1]
	v_mul_f64_e32 v[0:1], v[50:51], v[46:47]
	v_add_f64_e64 v[182:183], v[176:177], -v[136:137]
	s_delay_alu instid0(VALU_DEP_3) | instskip(NEXT) | instid1(VALU_DEP_3)
	v_add_f64_e64 v[168:169], v[186:187], -v[104:105]
	v_fma_f64 v[140:141], v[48:49], v[44:45], -v[0:1]
	v_mul_f64_e32 v[0:1], v[48:49], v[46:47]
	v_add_f64_e32 v[170:171], v[186:187], v[104:105]
	v_mul_f64_e32 v[206:207], s[22:23], v[182:183]
	v_mul_f64_e32 v[34:35], s[40:41], v[182:183]
	v_mul_f64_e32 v[230:231], s[36:37], v[182:183]
	v_mul_f64_e32 v[198:199], s[22:23], v[168:169]
	v_fma_f64 v[142:143], v[50:51], v[44:45], v[0:1]
	s_clause 0x1
	global_load_b128 v[48:51], v2, s[10:11] offset:64
	global_load_b128 v[52:55], v2, s[10:11] offset:80
	s_wait_loadcnt 0x2
	v_mul_f64_e32 v[0:1], v[82:83], v[62:63]
	s_delay_alu instid0(VALU_DEP_1) | instskip(SKIP_1) | instid1(VALU_DEP_2)
	v_fma_f64 v[106:107], v[80:81], v[60:61], -v[0:1]
	v_mul_f64_e32 v[0:1], v[80:81], v[62:63]
	v_add_f64_e32 v[174:175], v[140:141], v[106:107]
	s_delay_alu instid0(VALU_DEP_2) | instskip(SKIP_1) | instid1(VALU_DEP_2)
	v_fma_f64 v[138:139], v[82:83], v[60:61], v[0:1]
	v_add_f64_e64 v[202:203], v[140:141], -v[106:107]
	v_add_f64_e64 v[200:201], v[142:143], -v[138:139]
	v_add_f64_e32 v[184:185], v[142:143], v[138:139]
	s_delay_alu instid0(VALU_DEP_3) | instskip(SKIP_1) | instid1(VALU_DEP_4)
	v_mul_f64_e32 v[36:37], s[36:37], v[202:203]
	v_mul_f64_e32 v[228:229], s[22:23], v[202:203]
	;; [unrolled: 1-line block ×4, first 2 shown]
	s_delay_alu instid0(VALU_DEP_1) | instskip(SKIP_2) | instid1(VALU_DEP_1)
	v_fma_f64 v[224:225], v[174:175], s[20:21], v[26:27]
	s_wait_loadcnt 0x1
	v_mul_f64_e32 v[0:1], v[74:75], v[50:51]
	v_fma_f64 v[144:145], v[72:73], v[48:49], -v[0:1]
	v_mul_f64_e32 v[0:1], v[72:73], v[50:51]
	s_delay_alu instid0(VALU_DEP_1)
	v_fma_f64 v[146:147], v[74:75], v[48:49], v[0:1]
	s_clause 0x1
	global_load_b128 v[80:83], v2, s[10:11] offset:112
	global_load_b128 v[72:75], v2, s[10:11] offset:96
	s_wait_loadcnt 0x1
	v_mul_f64_e32 v[0:1], v[102:103], v[82:83]
	s_delay_alu instid0(VALU_DEP_1) | instskip(SKIP_1) | instid1(VALU_DEP_2)
	v_fma_f64 v[148:149], v[100:101], v[80:81], -v[0:1]
	v_mul_f64_e32 v[0:1], v[100:101], v[82:83]
	v_add_f64_e32 v[188:189], v[144:145], v[148:149]
	s_delay_alu instid0(VALU_DEP_2) | instskip(SKIP_2) | instid1(VALU_DEP_3)
	v_fma_f64 v[100:101], v[102:103], v[80:81], v[0:1]
	v_mul_f64_e32 v[0:1], v[98:99], v[54:55]
	v_add_f64_e64 v[210:211], v[144:145], -v[148:149]
	v_add_f64_e64 v[208:209], v[146:147], -v[100:101]
	s_delay_alu instid0(VALU_DEP_3)
	v_fma_f64 v[102:103], v[96:97], v[52:53], -v[0:1]
	v_mul_f64_e32 v[0:1], v[96:97], v[54:55]
	v_add_f64_e32 v[196:197], v[146:147], v[100:101]
	v_mul_f64_e32 v[20:21], s[38:39], v[210:211]
	v_mul_f64_e32 v[222:223], s[18:19], v[210:211]
	;; [unrolled: 1-line block ×3, first 2 shown]
	v_fma_f64 v[98:99], v[98:99], v[52:53], v[0:1]
	s_wait_loadcnt 0x0
	v_mul_f64_e32 v[0:1], v[94:95], v[74:75]
	s_delay_alu instid0(VALU_DEP_1) | instskip(SKIP_1) | instid1(VALU_DEP_2)
	v_fma_f64 v[96:97], v[92:93], v[72:73], -v[0:1]
	v_mul_f64_e32 v[0:1], v[92:93], v[74:75]
	v_add_f64_e32 v[192:193], v[102:103], v[96:97]
	s_delay_alu instid0(VALU_DEP_2) | instskip(SKIP_3) | instid1(VALU_DEP_4)
	v_fma_f64 v[92:93], v[94:95], v[72:73], v[0:1]
	v_fma_f64 v[0:1], v[237:238], s[14:15], v[239:240]
	v_add_f64_e32 v[94:95], v[134:135], v[132:133]
	v_add_f64_e64 v[214:215], v[102:103], -v[96:97]
	v_add_f64_e64 v[212:213], v[98:99], -v[92:93]
	s_delay_alu instid0(VALU_DEP_4) | instskip(NEXT) | instid1(VALU_DEP_4)
	v_add_f64_e32 v[0:1], v[88:89], v[0:1]
	v_fma_f64 v[2:3], v[94:95], s[12:13], v[190:191]
	v_add_f64_e32 v[204:205], v[98:99], v[92:93]
	v_mul_f64_e32 v[28:29], s[36:37], v[214:215]
	s_delay_alu instid0(VALU_DEP_3) | instskip(SKIP_1) | instid1(VALU_DEP_1)
	v_add_f64_e32 v[0:1], v[2:3], v[0:1]
	v_fma_f64 v[2:3], v[243:244], s[14:15], -v[245:246]
	v_add_f64_e32 v[2:3], v[90:91], v[2:3]
	s_delay_alu instid0(VALU_DEP_1) | instskip(SKIP_1) | instid1(VALU_DEP_1)
	v_add_f64_e32 v[2:3], v[4:5], v[2:3]
	v_fma_f64 v[4:5], v[156:157], s[20:21], v[198:199]
	v_add_f64_e32 v[0:1], v[4:5], v[0:1]
	v_fma_f64 v[4:5], v[170:171], s[20:21], -v[206:207]
	s_delay_alu instid0(VALU_DEP_1) | instskip(SKIP_1) | instid1(VALU_DEP_1)
	v_add_f64_e32 v[2:3], v[4:5], v[2:3]
	v_fma_f64 v[4:5], v[174:175], s[24:25], v[216:217]
	v_add_f64_e32 v[0:1], v[4:5], v[0:1]
	v_mul_f64_e32 v[4:5], s[28:29], v[202:203]
	scratch_store_b64 off, v[4:5], off offset:220 ; 8-byte Folded Spill
	v_fma_f64 v[4:5], v[184:185], s[24:25], -v[4:5]
	s_delay_alu instid0(VALU_DEP_1) | instskip(SKIP_3) | instid1(VALU_DEP_1)
	v_add_f64_e32 v[2:3], v[4:5], v[2:3]
	v_mul_f64_e32 v[4:5], s[42:43], v[208:209]
	scratch_store_b64 off, v[4:5], off offset:228 ; 8-byte Folded Spill
	v_fma_f64 v[4:5], v[188:189], s[26:27], v[4:5]
	v_add_f64_e32 v[0:1], v[4:5], v[0:1]
	v_mul_f64_e32 v[4:5], s[42:43], v[210:211]
	scratch_store_b64 off, v[4:5], off offset:244 ; 8-byte Folded Spill
	v_fma_f64 v[4:5], v[196:197], s[26:27], -v[4:5]
	s_delay_alu instid0(VALU_DEP_1) | instskip(SKIP_3) | instid1(VALU_DEP_1)
	v_add_f64_e32 v[2:3], v[4:5], v[2:3]
	v_mul_f64_e32 v[4:5], s[34:35], v[212:213]
	scratch_store_b64 off, v[4:5], off offset:236 ; 8-byte Folded Spill
	v_fma_f64 v[4:5], v[192:193], s[30:31], v[4:5]
	v_add_f64_e32 v[160:161], v[4:5], v[0:1]
	v_mul_f64_e32 v[0:1], s[34:35], v[214:215]
	scratch_store_b64 off, v[0:1], off offset:252 ; 8-byte Folded Spill
	v_fma_f64 v[0:1], v[204:205], s[30:31], -v[0:1]
	s_delay_alu instid0(VALU_DEP_1) | instskip(SKIP_1) | instid1(VALU_DEP_1)
	v_add_f64_e32 v[162:163], v[0:1], v[2:3]
	v_fma_f64 v[0:1], v[237:238], s[12:13], v[249:250]
	v_add_f64_e32 v[2:3], v[88:89], v[0:1]
	v_mul_f64_e32 v[0:1], s[28:29], v[164:165]
	s_delay_alu instid0(VALU_DEP_1) | instskip(NEXT) | instid1(VALU_DEP_1)
	v_fma_f64 v[4:5], v[94:95], s[24:25], v[0:1]
	v_add_f64_e32 v[4:5], v[4:5], v[2:3]
	v_fma_f64 v[2:3], v[243:244], s[12:13], -v[251:252]
	s_delay_alu instid0(VALU_DEP_1) | instskip(NEXT) | instid1(VALU_DEP_1)
	v_add_f64_e32 v[2:3], v[90:91], v[2:3]
	v_add_f64_e32 v[10:11], v[8:9], v[2:3]
	v_mul_f64_e32 v[2:3], s[34:35], v[168:169]
	s_delay_alu instid0(VALU_DEP_1) | instskip(NEXT) | instid1(VALU_DEP_1)
	v_fma_f64 v[8:9], v[156:157], s[30:31], v[2:3]
	v_add_f64_e32 v[12:13], v[8:9], v[4:5]
	v_mul_f64_e32 v[8:9], s[34:35], v[182:183]
	s_delay_alu instid0(VALU_DEP_1) | instskip(NEXT) | instid1(VALU_DEP_1)
	v_fma_f64 v[4:5], v[170:171], s[30:31], -v[8:9]
	v_add_f64_e32 v[10:11], v[4:5], v[10:11]
	v_mul_f64_e32 v[4:5], s[48:49], v[200:201]
	s_delay_alu instid0(VALU_DEP_1) | instskip(NEXT) | instid1(VALU_DEP_1)
	v_fma_f64 v[14:15], v[174:175], s[26:27], v[4:5]
	v_add_f64_e32 v[14:15], v[14:15], v[12:13]
	v_mul_f64_e32 v[12:13], s[48:49], v[202:203]
	s_delay_alu instid0(VALU_DEP_1) | instskip(NEXT) | instid1(VALU_DEP_1)
	v_fma_f64 v[16:17], v[184:185], s[26:27], -v[12:13]
	v_add_f64_e32 v[16:17], v[16:17], v[10:11]
	v_mul_f64_e32 v[10:11], s[38:39], v[208:209]
	s_delay_alu instid0(VALU_DEP_1) | instskip(NEXT) | instid1(VALU_DEP_1)
	v_fma_f64 v[18:19], v[188:189], s[20:21], v[10:11]
	v_add_f64_e32 v[14:15], v[18:19], v[14:15]
	v_fma_f64 v[18:19], v[196:197], s[20:21], -v[20:21]
	s_delay_alu instid0(VALU_DEP_1) | instskip(SKIP_1) | instid1(VALU_DEP_1)
	v_add_f64_e32 v[18:19], v[18:19], v[16:17]
	v_mul_f64_e32 v[16:17], s[36:37], v[212:213]
	v_fma_f64 v[22:23], v[192:193], s[14:15], v[16:17]
	s_delay_alu instid0(VALU_DEP_1) | instskip(SKIP_1) | instid1(VALU_DEP_1)
	v_add_f64_e32 v[124:125], v[22:23], v[14:15]
	v_fma_f64 v[14:15], v[204:205], s[14:15], -v[28:29]
	v_add_f64_e32 v[126:127], v[14:15], v[18:19]
	v_fma_f64 v[14:15], v[237:238], s[20:21], v[253:254]
	s_delay_alu instid0(VALU_DEP_1)
	v_add_f64_e32 v[18:19], v[88:89], v[14:15]
	v_mul_f64_e32 v[14:15], s[34:35], v[164:165]
	scratch_store_b64 off, v[16:17], off offset:268 ; 8-byte Folded Spill
	v_mul_f64_e32 v[16:17], s[34:35], v[166:167]
	scratch_store_b64 off, v[14:15], off offset:260 ; 8-byte Folded Spill
	v_fma_f64 v[22:23], v[94:95], s[30:31], v[14:15]
	v_mul_f64_e32 v[14:15], s[40:41], v[168:169]
	v_fma_f64 v[24:25], v[152:153], s[30:31], -v[16:17]
	s_delay_alu instid0(VALU_DEP_3) | instskip(SKIP_1) | instid1(VALU_DEP_4)
	v_add_f64_e32 v[18:19], v[22:23], v[18:19]
	v_fma_f64 v[22:23], v[243:244], s[20:21], -v[150:151]
	v_fma_f64 v[30:31], v[156:157], s[24:25], v[14:15]
	s_delay_alu instid0(VALU_DEP_2) | instskip(NEXT) | instid1(VALU_DEP_2)
	v_add_f64_e32 v[22:23], v[90:91], v[22:23]
	v_add_f64_e32 v[18:19], v[30:31], v[18:19]
	v_fma_f64 v[30:31], v[170:171], s[24:25], -v[34:35]
	s_delay_alu instid0(VALU_DEP_3) | instskip(SKIP_1) | instid1(VALU_DEP_2)
	v_add_f64_e32 v[24:25], v[24:25], v[22:23]
	v_mul_f64_e32 v[22:23], s[42:43], v[212:213]
	v_add_f64_e32 v[24:25], v[30:31], v[24:25]
	v_mul_f64_e32 v[30:31], s[36:37], v[200:201]
	scratch_store_b64 off, v[22:23], off offset:284 ; 8-byte Folded Spill
	v_fma_f64 v[120:121], v[192:193], s[26:27], v[22:23]
	v_mul_f64_e32 v[22:23], s[42:43], v[214:215]
	v_fma_f64 v[32:33], v[174:175], s[14:15], v[30:31]
	s_delay_alu instid0(VALU_DEP_1) | instskip(SKIP_1) | instid1(VALU_DEP_1)
	v_add_f64_e32 v[18:19], v[32:33], v[18:19]
	v_fma_f64 v[32:33], v[184:185], s[14:15], -v[36:37]
	v_add_f64_e32 v[24:25], v[32:33], v[24:25]
	v_mul_f64_e32 v[32:33], s[18:19], v[208:209]
	s_delay_alu instid0(VALU_DEP_1) | instskip(NEXT) | instid1(VALU_DEP_1)
	v_fma_f64 v[38:39], v[188:189], s[12:13], v[32:33]
	v_add_f64_e32 v[18:19], v[38:39], v[18:19]
	v_fma_f64 v[38:39], v[196:197], s[12:13], -v[222:223]
	s_delay_alu instid0(VALU_DEP_2) | instskip(NEXT) | instid1(VALU_DEP_2)
	v_add_f64_e32 v[128:129], v[120:121], v[18:19]
	v_add_f64_e32 v[38:39], v[38:39], v[24:25]
	v_fma_f64 v[18:19], v[204:205], s[26:27], -v[22:23]
	v_mul_f64_e32 v[24:25], s[36:37], v[168:169]
	s_delay_alu instid0(VALU_DEP_2) | instskip(SKIP_1) | instid1(VALU_DEP_3)
	v_add_f64_e32 v[130:131], v[18:19], v[38:39]
	v_fma_f64 v[18:19], v[237:238], s[24:25], v[154:155]
	v_fma_f64 v[220:221], v[156:157], s[14:15], v[24:25]
	s_delay_alu instid0(VALU_DEP_2) | instskip(SKIP_1) | instid1(VALU_DEP_1)
	v_add_f64_e32 v[38:39], v[88:89], v[18:19]
	v_mul_f64_e32 v[18:19], s[48:49], v[164:165]
	v_fma_f64 v[120:121], v[94:95], s[26:27], v[18:19]
	scratch_store_b64 off, v[18:19], off offset:276 ; 8-byte Folded Spill
	v_mul_f64_e32 v[18:19], s[48:49], v[166:167]
	global_wb scope:SCOPE_SE
	s_wait_storecnt 0x0
	s_barrier_signal -1
	s_barrier_wait -1
	global_inv scope:SCOPE_SE
	v_add_f64_e32 v[120:121], v[120:121], v[38:39]
	v_fma_f64 v[38:39], v[243:244], s[24:25], -v[158:159]
	v_fma_f64 v[218:219], v[152:153], s[26:27], -v[18:19]
	s_delay_alu instid0(VALU_DEP_3) | instskip(NEXT) | instid1(VALU_DEP_3)
	v_add_f64_e32 v[120:121], v[220:221], v[120:121]
	v_add_f64_e32 v[122:123], v[90:91], v[38:39]
	v_fma_f64 v[220:221], v[170:171], s[14:15], -v[230:231]
	s_delay_alu instid0(VALU_DEP_3) | instskip(NEXT) | instid1(VALU_DEP_3)
	v_add_f64_e32 v[120:121], v[224:225], v[120:121]
	v_add_f64_e32 v[122:123], v[218:219], v[122:123]
	v_fma_f64 v[224:225], v[184:185], s[20:21], -v[228:229]
	s_delay_alu instid0(VALU_DEP_2) | instskip(NEXT) | instid1(VALU_DEP_1)
	v_add_f64_e32 v[122:123], v[220:221], v[122:123]
	v_add_f64_e32 v[122:123], v[224:225], v[122:123]
	v_mul_f64_e32 v[224:225], s[46:47], v[208:209]
	s_delay_alu instid0(VALU_DEP_1) | instskip(NEXT) | instid1(VALU_DEP_1)
	v_fma_f64 v[226:227], v[188:189], s[30:31], v[224:225]
	v_add_f64_e32 v[120:121], v[226:227], v[120:121]
	v_fma_f64 v[226:227], v[196:197], s[30:31], -v[232:233]
	s_delay_alu instid0(VALU_DEP_1) | instskip(SKIP_1) | instid1(VALU_DEP_1)
	v_add_f64_e32 v[122:123], v[226:227], v[122:123]
	v_mul_f64_e32 v[226:227], s[44:45], v[212:213]
	v_fma_f64 v[234:235], v[192:193], s[12:13], v[226:227]
	s_delay_alu instid0(VALU_DEP_1) | instskip(SKIP_1) | instid1(VALU_DEP_1)
	v_add_f64_e32 v[120:121], v[234:235], v[120:121]
	v_mul_f64_e32 v[234:235], s[44:45], v[214:215]
	v_fma_f64 v[109:110], v[204:205], s[12:13], -v[234:235]
	s_delay_alu instid0(VALU_DEP_1)
	v_add_f64_e32 v[122:123], v[109:110], v[122:123]
	v_lshrrev_b32_e32 v109, 1, v111
	s_clause 0x1
	scratch_store_b32 off, v111, off offset:16
	scratch_store_b32 off, v109, off offset:192
	s_and_saveexec_b32 s1, s0
	s_cbranch_execz .LBB0_5
; %bb.4:
	v_mul_f64_e32 v[109:110], s[30:31], v[243:244]
	s_clause 0x1
	scratch_store_b64 off, v[112:113], off offset:292
	scratch_store_b64 off, v[114:115], off offset:300
	v_mul_f64_e32 v[113:114], s[26:27], v[243:244]
	v_add_f64_e32 v[38:39], v[90:91], v[180:181]
	scratch_store_b64 off, v[116:117], off offset:308 ; 8-byte Folded Spill
	v_dual_mov_b32 v221, v177 :: v_dual_mov_b32 v220, v176
	v_dual_mov_b32 v219, v133 :: v_dual_mov_b32 v218, v132
	v_mul_f64_e32 v[132:133], s[20:21], v[204:205]
	v_fma_f64 v[111:112], v[247:248], s[46:47], v[109:110]
	v_fma_f64 v[109:110], v[247:248], s[34:35], v[109:110]
	;; [unrolled: 1-line block ×4, first 2 shown]
	v_mul_f64_e32 v[247:248], s[24:25], v[243:244]
	scratch_store_b64 off, v[38:39], off offset:316 ; 8-byte Folded Spill
	v_add_f64_e32 v[38:39], v[88:89], v[178:179]
	v_add_f64_e32 v[111:112], v[90:91], v[111:112]
	;; [unrolled: 1-line block ×4, first 2 shown]
	v_mul_f64_e32 v[247:248], s[24:25], v[237:238]
	scratch_store_b64 off, v[38:39], off offset:324 ; 8-byte Folded Spill
	v_add_f64_e32 v[38:39], v[90:91], v[115:116]
	v_add_f64_e32 v[115:116], v[90:91], v[113:114]
	v_dual_mov_b32 v113, v172 :: v_dual_mov_b32 v114, v173
	v_add_f64_e32 v[158:159], v[90:91], v[158:159]
	v_add_f64_e64 v[154:155], v[247:248], -v[154:155]
	v_mul_f64_e32 v[247:248], s[20:21], v[243:244]
	scratch_store_b64 off, v[38:39], off offset:348 ; 8-byte Folded Spill
	v_add_f64_e32 v[154:155], v[88:89], v[154:155]
	v_add_f64_e32 v[150:151], v[150:151], v[247:248]
	v_mul_f64_e32 v[247:248], s[20:21], v[237:238]
	s_delay_alu instid0(VALU_DEP_2) | instskip(NEXT) | instid1(VALU_DEP_2)
	v_add_f64_e32 v[150:151], v[90:91], v[150:151]
	v_add_f64_e64 v[247:248], v[247:248], -v[253:254]
	v_mul_f64_e32 v[253:254], s[12:13], v[243:244]
	v_mul_f64_e32 v[243:244], s[14:15], v[243:244]
	s_delay_alu instid0(VALU_DEP_2) | instskip(SKIP_1) | instid1(VALU_DEP_3)
	v_add_f64_e32 v[251:252], v[251:252], v[253:254]
	v_mul_f64_e32 v[253:254], s[12:13], v[237:238]
	v_add_f64_e32 v[243:244], v[245:246], v[243:244]
	v_mul_f64_e32 v[245:246], s[34:35], v[241:242]
	v_mul_f64_e32 v[241:242], s[42:43], v[241:242]
	s_delay_alu instid0(VALU_DEP_4) | instskip(NEXT) | instid1(VALU_DEP_4)
	v_add_f64_e64 v[249:250], v[253:254], -v[249:250]
	v_add_f64_e32 v[38:39], v[90:91], v[243:244]
	s_delay_alu instid0(VALU_DEP_4)
	v_fma_f64 v[253:254], v[237:238], s[30:31], v[245:246]
	v_fma_f64 v[245:246], v[237:238], s[30:31], -v[245:246]
	v_fma_f64 v[117:118], v[237:238], s[26:27], v[241:242]
	v_fma_f64 v[241:242], v[237:238], s[26:27], -v[241:242]
	v_mul_f64_e32 v[237:238], s[14:15], v[237:238]
	v_add_f64_e32 v[249:250], v[88:89], v[249:250]
	scratch_store_b64 off, v[38:39], off offset:332 ; 8-byte Folded Spill
	v_add_f64_e32 v[178:179], v[88:89], v[253:254]
	v_add_f64_e32 v[180:181], v[88:89], v[245:246]
	v_add_f64_e32 v[245:246], v[88:89], v[247:248]
	v_add_f64_e32 v[247:248], v[90:91], v[251:252]
	v_add_f64_e64 v[237:238], v[237:238], -v[239:240]
	v_mul_f64_e32 v[251:252], s[14:15], v[152:153]
	v_add_f64_e32 v[117:118], v[88:89], v[117:118]
	v_add_f64_e32 v[241:242], v[88:89], v[241:242]
	s_delay_alu instid0(VALU_DEP_4) | instskip(NEXT) | instid1(VALU_DEP_4)
	v_add_f64_e32 v[38:39], v[88:89], v[237:238]
	v_fma_f64 v[88:89], v[166:167], s[16:17], v[251:252]
	scratch_store_b64 off, v[38:39], off offset:340 ; 8-byte Folded Spill
	v_add_f64_e32 v[88:89], v[88:89], v[111:112]
	v_mul_f64_e32 v[111:112], s[36:37], v[164:165]
	v_dual_mov_b32 v38, v136 :: v_dual_mov_b32 v39, v137
	v_dual_mov_b32 v137, v135 :: v_dual_mov_b32 v136, v134
	v_mul_f64_e32 v[134:135], s[38:39], v[212:213]
	s_delay_alu instid0(VALU_DEP_4) | instskip(SKIP_1) | instid1(VALU_DEP_2)
	v_fma_f64 v[90:91], v[94:95], s[14:15], v[111:112]
	v_fma_f64 v[111:112], v[94:95], s[14:15], -v[111:112]
	v_add_f64_e32 v[90:91], v[90:91], v[178:179]
	v_mul_f64_e32 v[178:179], s[26:27], v[170:171]
	s_delay_alu instid0(VALU_DEP_3) | instskip(NEXT) | instid1(VALU_DEP_2)
	v_add_f64_e32 v[111:112], v[111:112], v[180:181]
	v_fma_f64 v[253:254], v[182:183], s[48:49], v[178:179]
	s_delay_alu instid0(VALU_DEP_1) | instskip(SKIP_1) | instid1(VALU_DEP_1)
	v_add_f64_e32 v[88:89], v[253:254], v[88:89]
	v_mul_f64_e32 v[253:254], s[42:43], v[168:169]
	v_fma_f64 v[239:240], v[156:157], s[26:27], v[253:254]
	s_delay_alu instid0(VALU_DEP_1) | instskip(SKIP_1) | instid1(VALU_DEP_1)
	v_add_f64_e32 v[90:91], v[239:240], v[90:91]
	v_mul_f64_e32 v[239:240], s[12:13], v[184:185]
	;; [unrolled: 4-line block ×5, first 2 shown]
	v_fma_f64 v[176:177], v[188:189], s[24:25], v[172:173]
	v_fma_f64 v[172:173], v[188:189], s[24:25], -v[172:173]
	s_delay_alu instid0(VALU_DEP_2) | instskip(SKIP_2) | instid1(VALU_DEP_2)
	v_add_f64_e32 v[176:177], v[176:177], v[90:91]
	v_fma_f64 v[90:91], v[214:215], s[22:23], v[132:133]
	v_fma_f64 v[132:133], v[214:215], s[38:39], v[132:133]
	v_add_f64_e32 v[90:91], v[90:91], v[88:89]
	v_fma_f64 v[88:89], v[192:193], s[20:21], v[134:135]
	v_fma_f64 v[134:135], v[192:193], s[20:21], -v[134:135]
	s_delay_alu instid0(VALU_DEP_2) | instskip(SKIP_1) | instid1(VALU_DEP_1)
	v_add_f64_e32 v[88:89], v[88:89], v[176:177]
	v_fma_f64 v[176:177], v[166:167], s[36:37], v[251:252]
	v_add_f64_e32 v[109:110], v[176:177], v[109:110]
	v_fma_f64 v[176:177], v[182:183], s[42:43], v[178:179]
	s_delay_alu instid0(VALU_DEP_1) | instskip(SKIP_1) | instid1(VALU_DEP_1)
	v_add_f64_e32 v[109:110], v[176:177], v[109:110]
	v_fma_f64 v[176:177], v[156:157], s[26:27], -v[253:254]
	v_add_f64_e32 v[111:112], v[176:177], v[111:112]
	v_fma_f64 v[176:177], v[202:203], s[44:45], v[239:240]
	s_delay_alu instid0(VALU_DEP_1) | instskip(SKIP_1) | instid1(VALU_DEP_1)
	v_add_f64_e32 v[109:110], v[176:177], v[109:110]
	v_fma_f64 v[176:177], v[174:175], s[12:13], -v[237:238]
	v_add_f64_e32 v[111:112], v[176:177], v[111:112]
	v_fma_f64 v[176:177], v[210:211], s[28:29], v[243:244]
	s_delay_alu instid0(VALU_DEP_2) | instskip(NEXT) | instid1(VALU_DEP_2)
	v_add_f64_e32 v[111:112], v[172:173], v[111:112]
	v_add_f64_e32 v[109:110], v[176:177], v[109:110]
	s_delay_alu instid0(VALU_DEP_2) | instskip(NEXT) | instid1(VALU_DEP_2)
	v_add_f64_e32 v[178:179], v[134:135], v[111:112]
	v_add_f64_e32 v[180:181], v[132:133], v[109:110]
	v_mul_f64_e32 v[109:110], s[24:25], v[152:153]
	s_delay_alu instid0(VALU_DEP_1) | instskip(SKIP_1) | instid1(VALU_DEP_2)
	v_add_f64_e32 v[6:7], v[6:7], v[109:110]
	v_mul_f64_e32 v[109:110], s[24:25], v[94:95]
	v_add_f64_e32 v[6:7], v[6:7], v[247:248]
	s_delay_alu instid0(VALU_DEP_2) | instskip(SKIP_1) | instid1(VALU_DEP_2)
	v_add_f64_e64 v[0:1], v[109:110], -v[0:1]
	v_mul_f64_e32 v[109:110], s[30:31], v[170:171]
	v_add_f64_e32 v[0:1], v[0:1], v[249:250]
	s_delay_alu instid0(VALU_DEP_2) | instskip(SKIP_1) | instid1(VALU_DEP_2)
	v_add_f64_e32 v[8:9], v[8:9], v[109:110]
	v_mul_f64_e32 v[109:110], s[30:31], v[156:157]
	v_add_f64_e32 v[6:7], v[8:9], v[6:7]
	scratch_load_b64 v[8:9], off, off offset:268 th:TH_LOAD_LU ; 8-byte Folded Reload
	v_add_f64_e64 v[2:3], v[109:110], -v[2:3]
	v_mul_f64_e32 v[109:110], s[26:27], v[184:185]
	s_delay_alu instid0(VALU_DEP_2) | instskip(NEXT) | instid1(VALU_DEP_2)
	v_add_f64_e32 v[0:1], v[2:3], v[0:1]
	v_add_f64_e32 v[12:13], v[12:13], v[109:110]
	v_mul_f64_e32 v[109:110], s[26:27], v[174:175]
	v_mul_f64_e32 v[2:3], s[14:15], v[204:205]
	s_delay_alu instid0(VALU_DEP_3) | instskip(NEXT) | instid1(VALU_DEP_3)
	v_add_f64_e32 v[6:7], v[12:13], v[6:7]
	v_add_f64_e64 v[4:5], v[109:110], -v[4:5]
	v_mul_f64_e32 v[109:110], s[20:21], v[196:197]
	s_delay_alu instid0(VALU_DEP_4) | instskip(SKIP_1) | instid1(VALU_DEP_4)
	v_add_f64_e32 v[2:3], v[28:29], v[2:3]
	v_mul_f64_e32 v[12:13], s[14:15], v[184:185]
	v_add_f64_e32 v[0:1], v[4:5], v[0:1]
	v_mul_f64_e32 v[4:5], s[14:15], v[192:193]
	;; [unrolled: 2-line block ×4, first 2 shown]
	s_delay_alu instid0(VALU_DEP_4) | instskip(NEXT) | instid1(VALU_DEP_4)
	v_add_f64_e32 v[6:7], v[20:21], v[6:7]
	v_add_f64_e64 v[10:11], v[109:110], -v[10:11]
	v_mul_f64_e32 v[20:21], s[12:13], v[188:189]
	s_delay_alu instid0(VALU_DEP_3) | instskip(NEXT) | instid1(VALU_DEP_3)
	v_add_f64_e32 v[2:3], v[2:3], v[6:7]
	v_add_f64_e32 v[0:1], v[10:11], v[0:1]
	v_mul_f64_e32 v[6:7], s[30:31], v[94:95]
	v_mul_f64_e32 v[10:11], s[24:25], v[156:157]
	v_add_f64_e64 v[20:21], v[20:21], -v[32:33]
	s_delay_alu instid0(VALU_DEP_2) | instskip(SKIP_1) | instid1(VALU_DEP_1)
	v_add_f64_e64 v[10:11], v[10:11], -v[14:15]
	v_mul_f64_e32 v[14:15], s[14:15], v[174:175]
	v_add_f64_e64 v[14:15], v[14:15], -v[30:31]
	s_wait_loadcnt 0x0
	v_add_f64_e64 v[4:5], v[4:5], -v[8:9]
	scratch_load_b64 v[8:9], off, off offset:260 th:TH_LOAD_LU ; 8-byte Folded Reload
	v_add_f64_e32 v[0:1], v[4:5], v[0:1]
	v_mul_f64_e32 v[4:5], s[30:31], v[152:153]
	s_delay_alu instid0(VALU_DEP_1) | instskip(SKIP_1) | instid1(VALU_DEP_2)
	v_add_f64_e32 v[4:5], v[16:17], v[4:5]
	v_mul_f64_e32 v[16:17], s[12:13], v[196:197]
	v_add_f64_e32 v[4:5], v[4:5], v[150:151]
	s_delay_alu instid0(VALU_DEP_2) | instskip(SKIP_3) | instid1(VALU_DEP_2)
	v_add_f64_e32 v[16:17], v[222:223], v[16:17]
	s_wait_loadcnt 0x0
	v_add_f64_e64 v[6:7], v[6:7], -v[8:9]
	v_mul_f64_e32 v[8:9], s[24:25], v[170:171]
	v_add_f64_e32 v[6:7], v[6:7], v[245:246]
	s_delay_alu instid0(VALU_DEP_2) | instskip(SKIP_1) | instid1(VALU_DEP_3)
	v_add_f64_e32 v[8:9], v[34:35], v[8:9]
	v_mul_f64_e32 v[34:35], s[28:29], v[212:213]
	v_add_f64_e32 v[6:7], v[10:11], v[6:7]
	s_delay_alu instid0(VALU_DEP_3) | instskip(SKIP_2) | instid1(VALU_DEP_4)
	v_add_f64_e32 v[4:5], v[8:9], v[4:5]
	v_mul_f64_e32 v[8:9], s[26:27], v[204:205]
	v_mul_f64_e32 v[10:11], s[26:27], v[192:193]
	v_add_f64_e32 v[6:7], v[14:15], v[6:7]
	s_delay_alu instid0(VALU_DEP_4)
	v_add_f64_e32 v[4:5], v[12:13], v[4:5]
	scratch_load_b64 v[12:13], off, off offset:284 th:TH_LOAD_LU ; 8-byte Folded Reload
	v_add_f64_e32 v[8:9], v[22:23], v[8:9]
	v_mul_f64_e32 v[14:15], s[26:27], v[94:95]
	v_mul_f64_e32 v[22:23], s[30:31], v[188:189]
	v_add_f64_e32 v[4:5], v[16:17], v[4:5]
	scratch_load_b64 v[16:17], off, off offset:276 th:TH_LOAD_LU ; 8-byte Folded Reload
	v_add_f64_e64 v[22:23], v[22:23], -v[224:225]
	s_wait_loadcnt 0x1
	v_add_f64_e64 v[10:11], v[10:11], -v[12:13]
	v_add_f64_e32 v[12:13], v[20:21], v[6:7]
	v_add_f64_e32 v[6:7], v[8:9], v[4:5]
	v_mul_f64_e32 v[8:9], s[14:15], v[170:171]
	v_mul_f64_e32 v[20:21], s[30:31], v[196:197]
	s_wait_loadcnt 0x0
	v_add_f64_e64 v[14:15], v[14:15], -v[16:17]
	v_add_f64_e32 v[4:5], v[10:11], v[12:13]
	v_mul_f64_e32 v[10:11], s[26:27], v[152:153]
	v_mul_f64_e32 v[12:13], s[14:15], v[156:157]
	v_add_f64_e32 v[8:9], v[230:231], v[8:9]
	v_mul_f64_e32 v[16:17], s[20:21], v[184:185]
	v_add_f64_e32 v[20:21], v[232:233], v[20:21]
	v_add_f64_e32 v[14:15], v[14:15], v[154:155]
	;; [unrolled: 1-line block ×3, first 2 shown]
	v_add_f64_e64 v[12:13], v[12:13], -v[24:25]
	v_mul_f64_e32 v[18:19], s[20:21], v[174:175]
	v_add_f64_e32 v[16:17], v[228:229], v[16:17]
	s_delay_alu instid0(VALU_DEP_4) | instskip(NEXT) | instid1(VALU_DEP_3)
	v_add_f64_e32 v[10:11], v[10:11], v[158:159]
	v_add_f64_e64 v[18:19], v[18:19], -v[26:27]
	s_delay_alu instid0(VALU_DEP_2) | instskip(SKIP_3) | instid1(VALU_DEP_4)
	v_add_f64_e32 v[8:9], v[8:9], v[10:11]
	v_add_f64_e32 v[10:11], v[12:13], v[14:15]
	v_mul_f64_e32 v[12:13], s[12:13], v[204:205]
	v_mul_f64_e32 v[14:15], s[12:13], v[192:193]
	v_add_f64_e32 v[8:9], v[16:17], v[8:9]
	s_delay_alu instid0(VALU_DEP_4) | instskip(NEXT) | instid1(VALU_DEP_4)
	v_add_f64_e32 v[10:11], v[18:19], v[10:11]
	v_add_f64_e32 v[12:13], v[234:235], v[12:13]
	s_delay_alu instid0(VALU_DEP_4) | instskip(SKIP_4) | instid1(VALU_DEP_3)
	v_add_f64_e64 v[14:15], v[14:15], -v[226:227]
	v_mul_f64_e32 v[18:19], s[38:39], v[164:165]
	v_add_f64_e32 v[8:9], v[20:21], v[8:9]
	v_add_f64_e32 v[16:17], v[22:23], v[10:11]
	v_mul_f64_e32 v[20:21], s[12:13], v[170:171]
	v_add_f64_e32 v[10:11], v[12:13], v[8:9]
	s_delay_alu instid0(VALU_DEP_3) | instskip(SKIP_1) | instid1(VALU_DEP_4)
	v_add_f64_e32 v[8:9], v[14:15], v[16:17]
	v_mul_f64_e32 v[16:17], s[20:21], v[152:153]
	v_fma_f64 v[22:23], v[182:183], s[18:19], v[20:21]
	v_fma_f64 v[14:15], v[94:95], s[20:21], -v[18:19]
	v_fma_f64 v[20:21], v[182:183], s[44:45], v[20:21]
	v_fma_f64 v[18:19], v[94:95], s[20:21], v[18:19]
	;; [unrolled: 1-line block ×4, first 2 shown]
	v_add_f64_e32 v[14:15], v[14:15], v[241:242]
	s_delay_alu instid0(VALU_DEP_4) | instskip(NEXT) | instid1(VALU_DEP_4)
	v_add_f64_e32 v[18:19], v[18:19], v[117:118]
	v_add_f64_e32 v[12:13], v[12:13], v[115:116]
	s_delay_alu instid0(VALU_DEP_1) | instskip(SKIP_1) | instid1(VALU_DEP_1)
	v_add_f64_e32 v[12:13], v[22:23], v[12:13]
	v_mul_f64_e32 v[22:23], s[18:19], v[168:169]
	v_fma_f64 v[24:25], v[156:157], s[12:13], -v[22:23]
	s_delay_alu instid0(VALU_DEP_1) | instskip(SKIP_1) | instid1(VALU_DEP_1)
	v_add_f64_e32 v[14:15], v[24:25], v[14:15]
	v_mul_f64_e32 v[24:25], s[30:31], v[184:185]
	v_fma_f64 v[26:27], v[202:203], s[46:47], v[24:25]
	v_fma_f64 v[24:25], v[202:203], s[34:35], v[24:25]
	s_delay_alu instid0(VALU_DEP_2) | instskip(SKIP_1) | instid1(VALU_DEP_1)
	v_add_f64_e32 v[12:13], v[26:27], v[12:13]
	v_mul_f64_e32 v[26:27], s[46:47], v[200:201]
	v_fma_f64 v[28:29], v[174:175], s[30:31], -v[26:27]
	s_delay_alu instid0(VALU_DEP_1) | instskip(SKIP_1) | instid1(VALU_DEP_1)
	v_add_f64_e32 v[14:15], v[28:29], v[14:15]
	v_mul_f64_e32 v[28:29], s[14:15], v[196:197]
	v_fma_f64 v[30:31], v[210:211], s[36:37], v[28:29]
	v_fma_f64 v[28:29], v[210:211], s[16:17], v[28:29]
	s_delay_alu instid0(VALU_DEP_2) | instskip(SKIP_1) | instid1(VALU_DEP_1)
	v_add_f64_e32 v[12:13], v[30:31], v[12:13]
	v_mul_f64_e32 v[30:31], s[36:37], v[208:209]
	v_fma_f64 v[32:33], v[188:189], s[14:15], -v[30:31]
	s_delay_alu instid0(VALU_DEP_1) | instskip(SKIP_1) | instid1(VALU_DEP_1)
	v_add_f64_e32 v[32:33], v[32:33], v[14:15]
	v_fma_f64 v[14:15], v[214:215], s[28:29], v[36:37]
	v_add_f64_e32 v[14:15], v[14:15], v[12:13]
	v_fma_f64 v[12:13], v[192:193], s[24:25], -v[34:35]
	s_delay_alu instid0(VALU_DEP_1)
	v_add_f64_e32 v[12:13], v[12:13], v[32:33]
	v_fma_f64 v[32:33], v[214:215], s[40:41], v[36:37]
	scratch_load_b64 v[36:37], off, off offset:348 th:TH_LOAD_LU ; 8-byte Folded Reload
	s_wait_loadcnt 0x0
	v_add_f64_e32 v[16:17], v[16:17], v[36:37]
	scratch_load_b64 v[36:37], off, off offset:228 th:TH_LOAD_LU ; 8-byte Folded Reload
	v_add_f64_e32 v[16:17], v[20:21], v[16:17]
	v_fma_f64 v[20:21], v[156:157], s[12:13], v[22:23]
	v_fma_f64 v[22:23], v[192:193], s[24:25], v[34:35]
	scratch_load_b64 v[34:35], off, off offset:244 th:TH_LOAD_LU ; 8-byte Folded Reload
	v_add_f64_e32 v[16:17], v[24:25], v[16:17]
	v_add_f64_e32 v[18:19], v[20:21], v[18:19]
	v_fma_f64 v[20:21], v[174:175], s[30:31], v[26:27]
	v_mul_f64_e32 v[24:25], s[20:21], v[170:171]
	v_mul_f64_e32 v[26:27], s[20:21], v[156:157]
	v_add_f64_e32 v[16:17], v[28:29], v[16:17]
	v_mul_f64_e32 v[28:29], s[24:25], v[184:185]
	v_add_f64_e32 v[18:19], v[20:21], v[18:19]
	v_fma_f64 v[20:21], v[188:189], s[14:15], v[30:31]
	scratch_load_b64 v[30:31], off, off offset:220 th:TH_LOAD_LU ; 8-byte Folded Reload
	v_add_f64_e32 v[24:25], v[206:207], v[24:25]
	v_add_f64_e64 v[26:27], v[26:27], -v[198:199]
	v_add_f64_e32 v[20:21], v[20:21], v[18:19]
	v_add_f64_e32 v[18:19], v[32:33], v[16:17]
	v_mul_f64_e32 v[32:33], s[26:27], v[196:197]
	s_delay_alu instid0(VALU_DEP_3) | instskip(SKIP_2) | instid1(VALU_DEP_2)
	v_add_f64_e32 v[16:17], v[22:23], v[20:21]
	v_mul_f64_e32 v[20:21], s[12:13], v[152:153]
	v_mul_f64_e32 v[22:23], s[12:13], v[94:95]
	v_add_f64_e32 v[20:21], v[194:195], v[20:21]
	s_delay_alu instid0(VALU_DEP_2)
	v_add_f64_e64 v[22:23], v[22:23], -v[190:191]
	s_wait_loadcnt 0x1
	v_add_f64_e32 v[32:33], v[34:35], v[32:33]
	scratch_load_b64 v[34:35], off, off offset:332 th:TH_LOAD_LU ; 8-byte Folded Reload
	s_wait_loadcnt 0x1
	v_add_f64_e32 v[28:29], v[30:31], v[28:29]
	v_mul_f64_e32 v[30:31], s[24:25], v[174:175]
	s_delay_alu instid0(VALU_DEP_1)
	v_add_f64_e64 v[30:31], v[30:31], -v[216:217]
	s_wait_loadcnt 0x0
	v_add_f64_e32 v[20:21], v[20:21], v[34:35]
	scratch_load_b64 v[34:35], off, off offset:340 th:TH_LOAD_LU ; 8-byte Folded Reload
	v_add_f64_e32 v[20:21], v[24:25], v[20:21]
	v_mul_f64_e32 v[24:25], s[30:31], v[204:205]
	s_delay_alu instid0(VALU_DEP_2)
	v_add_f64_e32 v[20:21], v[28:29], v[20:21]
	scratch_load_b64 v[28:29], off, off offset:236 th:TH_LOAD_LU ; 8-byte Folded Reload
	v_add_f64_e32 v[20:21], v[32:33], v[20:21]
	s_wait_loadcnt 0x1
	v_add_f64_e32 v[22:23], v[22:23], v[34:35]
	v_mul_f64_e32 v[34:35], s[26:27], v[188:189]
	s_delay_alu instid0(VALU_DEP_2)
	v_add_f64_e32 v[22:23], v[26:27], v[22:23]
	scratch_load_b64 v[26:27], off, off offset:252 th:TH_LOAD_LU ; 8-byte Folded Reload
	v_add_f64_e64 v[34:35], v[34:35], -v[36:37]
	v_add_f64_e32 v[22:23], v[30:31], v[22:23]
	s_wait_loadcnt 0x0
	v_add_f64_e32 v[24:25], v[26:27], v[24:25]
	v_mul_f64_e32 v[26:27], s[30:31], v[192:193]
	s_delay_alu instid0(VALU_DEP_1) | instskip(NEXT) | instid1(VALU_DEP_4)
	v_add_f64_e64 v[26:27], v[26:27], -v[28:29]
	v_add_f64_e32 v[28:29], v[34:35], v[22:23]
	s_delay_alu instid0(VALU_DEP_4)
	v_add_f64_e32 v[22:23], v[24:25], v[20:21]
	scratch_load_b64 v[24:25], off, off offset:316 th:TH_LOAD_LU ; 8-byte Folded Reload
	v_add_f64_e32 v[20:21], v[26:27], v[28:29]
	s_clause 0x1
	scratch_load_b64 v[26:27], off, off offset:324 th:TH_LOAD_LU
	scratch_load_b64 v[28:29], off, off offset:308 th:TH_LOAD_LU
	s_wait_loadcnt 0x2
	v_add_f64_e32 v[24:25], v[24:25], v[113:114]
	s_wait_loadcnt 0x1
	v_add_f64_e32 v[26:27], v[26:27], v[136:137]
	s_delay_alu instid0(VALU_DEP_2) | instskip(NEXT) | instid1(VALU_DEP_2)
	v_add_f64_e32 v[24:25], v[24:25], v[186:187]
	v_add_f64_e32 v[26:27], v[26:27], v[220:221]
	s_delay_alu instid0(VALU_DEP_2) | instskip(NEXT) | instid1(VALU_DEP_2)
	v_add_f64_e32 v[24:25], v[24:25], v[142:143]
	;; [unrolled: 3-line block ×8, first 2 shown]
	v_add_f64_e32 v[26:27], v[26:27], v[38:39]
	s_wait_loadcnt 0x0
	s_delay_alu instid0(VALU_DEP_2) | instskip(NEXT) | instid1(VALU_DEP_2)
	v_add_f64_e32 v[24:25], v[24:25], v[28:29]
	v_add_f64_e32 v[28:29], v[26:27], v[218:219]
	scratch_load_b64 v[26:27], off, off offset:292 th:TH_LOAD_LU ; 8-byte Folded Reload
	s_wait_loadcnt 0x0
	v_add_f64_e32 v[26:27], v[24:25], v[26:27]
	scratch_load_b64 v[24:25], off, off offset:300 th:TH_LOAD_LU ; 8-byte Folded Reload
	s_wait_loadcnt 0x0
	v_add_f64_e32 v[24:25], v[28:29], v[24:25]
	s_clause 0x1
	scratch_load_b32 v28, off, off offset:192
	scratch_load_b32 v29, off, off offset:188
	s_wait_loadcnt 0x1
	v_mul_u32_u24_e32 v28, 26, v28
	s_wait_loadcnt 0x0
	s_delay_alu instid0(VALU_DEP_1) | instskip(NEXT) | instid1(VALU_DEP_1)
	v_or_b32_e32 v28, v28, v29
	v_lshlrev_b32_e32 v28, 4, v28
	ds_store_b128 v28, v[0:3] offset:64
	ds_store_b128 v28, v[4:7] offset:96
	;; [unrolled: 1-line block ×11, first 2 shown]
	ds_store_b128 v28, v[24:27]
	ds_store_b128 v28, v[160:163] offset:384
.LBB0_5:
	s_wait_alu 0xfffe
	s_or_b32 exec_lo, exec_lo, s1
	global_wb scope:SCOPE_SE
	s_wait_storecnt_dscnt 0x0
	s_barrier_signal -1
	s_barrier_wait -1
	global_inv scope:SCOPE_SE
	ds_load_b128 v[136:139], v236
	ds_load_b128 v[132:135], v236 offset:1872
	ds_load_b128 v[156:159], v236 offset:12480
	;; [unrolled: 1-line block ×8, first 2 shown]
	scratch_load_b32 v247, off, off offset:16 ; 4-byte Folded Reload
	s_wait_loadcnt 0x0
	v_cmp_gt_u16_e64 vcc_lo, 39, v247
	s_delay_alu instid0(VALU_DEP_1)
	s_and_saveexec_b32 s1, vcc_lo
	s_cbranch_execz .LBB0_7
; %bb.6:
	ds_load_b128 v[120:123], v236 offset:5616
	ds_load_b128 v[128:131], v236 offset:11856
	;; [unrolled: 1-line block ×3, first 2 shown]
.LBB0_7:
	s_wait_alu 0xfffe
	s_or_b32 exec_lo, exec_lo, s1
	v_and_b32_e32 v0, 0xff, v247
	v_and_b32_e32 v2, 0xffff, v108
	v_dual_mov_b32 v214, v119 :: v_dual_and_b32 v1, 0xff, v255
	v_and_b32_e32 v3, 0xffff, v119
	s_delay_alu instid0(VALU_DEP_4) | instskip(NEXT) | instid1(VALU_DEP_4)
	v_mul_lo_u16 v0, 0x4f, v0
	v_mul_u32_u24_e32 v2, 0x4ec5, v2
	s_delay_alu instid0(VALU_DEP_4)
	v_mul_lo_u16 v1, 0x4f, v1
	s_mov_b32 s12, 0xe8584caa
	v_mul_u32_u24_e32 v3, 0x4ec5, v3
	v_lshrrev_b16 v174, 11, v0
	v_lshrrev_b32_e32 v176, 19, v2
	v_lshrrev_b16 v175, 11, v1
	s_mov_b32 s13, 0x3febb67a
	v_lshrrev_b32_e32 v177, 19, v3
	v_mul_lo_u16 v0, v174, 26
	v_mul_lo_u16 v2, v176, 26
	;; [unrolled: 1-line block ×3, first 2 shown]
	s_mov_b32 s15, 0xbfebb67a
	v_mul_lo_u16 v3, v177, 26
	v_sub_nc_u16 v0, v247, v0
	v_sub_nc_u16 v178, v108, v2
	v_sub_nc_u16 v1, v255, v1
	s_wait_alu 0xfffe
	s_mov_b32 s14, s12
	v_sub_nc_u16 v179, v119, v3
	v_and_b32_e32 v180, 0xff, v0
	v_lshlrev_b16 v0, 5, v178
	v_and_b32_e32 v181, 0xff, v1
	s_delay_alu instid0(VALU_DEP_4) | instskip(NEXT) | instid1(VALU_DEP_4)
	v_lshlrev_b16 v1, 5, v179
	v_lshlrev_b32_e32 v2, 5, v180
	s_delay_alu instid0(VALU_DEP_4) | instskip(NEXT) | instid1(VALU_DEP_4)
	v_and_b32_e32 v0, 0xffff, v0
	v_lshlrev_b32_e32 v3, 5, v181
	v_mad_u16 v248, 0x4e, v177, v179
	v_and_b32_e32 v4, 0xffff, v1
	s_clause 0x3
	global_load_b128 v[92:95], v2, s[10:11] offset:400
	global_load_b128 v[108:111], v2, s[10:11] offset:384
	;; [unrolled: 1-line block ×4, first 2 shown]
	v_add_co_u32 v0, s1, s10, v0
	s_wait_alu 0xf1ff
	v_add_co_ci_u32_e64 v1, null, s11, 0, s1
	v_add_co_u32 v2, s1, s10, v4
	s_wait_alu 0xf1ff
	v_add_co_ci_u32_e64 v3, null, s11, 0, s1
	s_clause 0x3
	global_load_b128 v[104:107], v[0:1], off offset:384
	global_load_b128 v[100:103], v[0:1], off offset:400
	;; [unrolled: 1-line block ×4, first 2 shown]
	global_wb scope:SCOPE_SE
	s_wait_loadcnt_dscnt 0x0
	s_barrier_signal -1
	s_barrier_wait -1
	global_inv scope:SCOPE_SE
	v_mul_f64_e32 v[2:3], v[158:159], v[94:95]
	v_mul_f64_e32 v[0:1], v[170:171], v[110:111]
	;; [unrolled: 1-line block ×16, first 2 shown]
	v_fma_f64 v[34:35], v[156:157], v[92:93], -v[2:3]
	v_fma_f64 v[32:33], v[168:169], v[108:109], -v[0:1]
	v_fma_f64 v[36:37], v[170:171], v[108:109], v[4:5]
	v_fma_f64 v[38:39], v[158:159], v[92:93], v[6:7]
	v_fma_f64 v[8:9], v[164:165], v[96:97], -v[8:9]
	v_fma_f64 v[144:145], v[144:145], v[88:89], -v[10:11]
	v_fma_f64 v[10:11], v[166:167], v[96:97], v[12:13]
	v_fma_f64 v[146:147], v[146:147], v[88:89], v[14:15]
	v_fma_f64 v[12:13], v[148:149], v[104:105], -v[16:17]
	v_fma_f64 v[18:19], v[152:153], v[100:101], -v[18:19]
	;; [unrolled: 1-line block ×4, first 2 shown]
	v_fma_f64 v[6:7], v[130:131], v[116:117], v[28:29]
	v_fma_f64 v[4:5], v[126:127], v[112:113], v[30:31]
	;; [unrolled: 1-line block ×4, first 2 shown]
	v_add_f64_e32 v[16:17], v[32:33], v[34:35]
	v_add_f64_e32 v[128:129], v[136:137], v[32:33]
	v_add_f64_e32 v[22:23], v[36:37], v[38:39]
	v_add_f64_e64 v[130:131], v[36:37], -v[38:39]
	v_add_f64_e32 v[24:25], v[8:9], v[144:145]
	v_add_f64_e32 v[36:37], v[138:139], v[36:37]
	v_add_f64_e32 v[26:27], v[10:11], v[146:147]
	v_add_f64_e64 v[32:33], v[32:33], -v[34:35]
	;; [unrolled: 4-line block ×3, first 2 shown]
	v_add_f64_e32 v[124:125], v[2:3], v[0:1]
	v_add_f64_e64 v[170:171], v[2:3], -v[0:1]
	v_add_f64_e32 v[126:127], v[6:7], v[4:5]
	v_add_f64_e64 v[166:167], v[6:7], -v[4:5]
	;; [unrolled: 2-line block ×3, first 2 shown]
	v_add_f64_e32 v[152:153], v[140:141], v[12:13]
	v_add_f64_e32 v[154:155], v[142:143], v[14:15]
	v_add_f64_e64 v[158:159], v[14:15], -v[20:21]
	v_add_f64_e64 v[164:165], v[12:13], -v[18:19]
	v_fma_f64 v[136:137], v[16:17], -0.5, v[136:137]
	v_add_f64_e32 v[10:11], v[128:129], v[34:35]
	v_fma_f64 v[138:139], v[22:23], -0.5, v[138:139]
	v_fma_f64 v[132:133], v[24:25], -0.5, v[132:133]
	v_add_f64_e32 v[12:13], v[36:37], v[38:39]
	v_fma_f64 v[134:135], v[26:27], -0.5, v[134:135]
	v_and_b32_e32 v38, 0xffff, v175
	v_add_f64_e32 v[14:15], v[148:149], v[144:145]
	v_add_f64_e32 v[16:17], v[150:151], v[146:147]
	v_fma_f64 v[140:141], v[28:29], -0.5, v[140:141]
	v_mad_u16 v39, 0x4e, v176, v178
	v_fma_f64 v[168:169], v[124:125], -0.5, v[120:121]
	v_mul_u32_u24_e32 v38, 0x4e, v38
	v_fma_f64 v[172:173], v[126:127], -0.5, v[122:123]
	v_fma_f64 v[142:143], v[30:31], -0.5, v[142:143]
	v_and_b32_e32 v39, 0xffff, v39
	v_add_f64_e32 v[18:19], v[152:153], v[18:19]
	v_add_f64_e32 v[20:21], v[154:155], v[20:21]
	v_add_lshl_u32 v250, v38, v181, 4
	s_delay_alu instid0(VALU_DEP_4)
	v_lshlrev_b32_e32 v249, 4, v39
	v_fma_f64 v[22:23], v[130:131], s[12:13], v[136:137]
	s_wait_alu 0xfffe
	v_fma_f64 v[26:27], v[130:131], s[14:15], v[136:137]
	v_fma_f64 v[24:25], v[32:33], s[14:15], v[138:139]
	;; [unrolled: 1-line block ×7, first 2 shown]
	v_and_b32_e32 v8, 0xffff, v174
	v_lshlrev_b32_e32 v9, 1, v247
	v_fma_f64 v[124:125], v[158:159], s[12:13], v[140:141]
	v_fma_f64 v[128:129], v[158:159], s[14:15], v[140:141]
	v_fma_f64 v[188:189], v[166:167], s[12:13], v[168:169]
	v_fma_f64 v[192:193], v[166:167], s[14:15], v[168:169]
	v_fma_f64 v[190:191], v[170:171], s[14:15], v[172:173]
	v_fma_f64 v[194:195], v[170:171], s[12:13], v[172:173]
	v_fma_f64 v[126:127], v[164:165], s[14:15], v[142:143]
	v_fma_f64 v[130:131], v[164:165], s[12:13], v[142:143]
	v_mul_u32_u24_e32 v132, 0x4e, v8
	v_lshlrev_b32_e32 v8, 1, v255
	s_delay_alu instid0(VALU_DEP_2)
	v_add_lshl_u32 v251, v132, v180, 4
	ds_store_b128 v251, v[10:13]
	ds_store_b128 v251, v[22:25] offset:416
	ds_store_b128 v251, v[26:29] offset:832
	ds_store_b128 v250, v[14:17]
	ds_store_b128 v250, v[30:33] offset:416
	ds_store_b128 v250, v[34:37] offset:832
	;; [unrolled: 3-line block ×3, first 2 shown]
	s_and_saveexec_b32 s1, vcc_lo
	s_cbranch_execz .LBB0_9
; %bb.8:
	v_add_f64_e32 v[6:7], v[122:123], v[6:7]
	v_add_f64_e32 v[10:11], v[120:121], v[2:3]
	s_delay_alu instid0(VALU_DEP_2) | instskip(NEXT) | instid1(VALU_DEP_2)
	v_add_f64_e32 v[2:3], v[6:7], v[4:5]
	v_add_f64_e32 v[0:1], v[10:11], v[0:1]
	v_and_b32_e32 v4, 0xffff, v248
	s_delay_alu instid0(VALU_DEP_1)
	v_lshlrev_b32_e32 v4, 4, v4
	ds_store_b128 v4, v[0:3]
	ds_store_b128 v4, v[188:191] offset:416
	ds_store_b128 v4, v[192:195] offset:832
.LBB0_9:
	s_wait_alu 0xfffe
	s_or_b32 exec_lo, exec_lo, s1
	v_add_co_u32 v0, s1, 0xffffffb2, v247
	s_wait_alu 0xf1ff
	v_add_co_ci_u32_e64 v1, null, 0, -1, s1
	v_cmp_gt_u16_e64 s1, 0x4e, v247
	global_wb scope:SCOPE_SE
	s_wait_dscnt 0x0
	s_barrier_signal -1
	s_barrier_wait -1
	global_inv scope:SCOPE_SE
	s_wait_alu 0xf1ff
	v_cndmask_b32_e64 v0, v0, v247, s1
	v_cndmask_b32_e64 v1, v1, 0, s1
	s_mov_b32 s16, 0x134454ff
	s_mov_b32 s17, 0x3fee6f0e
	;; [unrolled: 1-line block ×3, first 2 shown]
	s_wait_alu 0xfffe
	s_mov_b32 s18, s16
	v_lshlrev_b64_e32 v[1:2], 6, v[0:1]
	s_mov_b32 s12, 0x4755a5e
	s_mov_b32 s13, 0x3fe2cf23
	;; [unrolled: 1-line block ×3, first 2 shown]
	s_wait_alu 0xfffe
	s_mov_b32 s14, s12
	s_mov_b32 s20, 0x372fe950
	v_add_co_u32 v1, s1, s10, v1
	s_wait_alu 0xf1ff
	v_add_co_ci_u32_e64 v2, s1, s11, v2, s1
	s_clause 0x3
	global_load_b128 v[132:135], v[1:2], off offset:1216
	global_load_b128 v[124:127], v[1:2], off offset:1232
	global_load_b128 v[120:123], v[1:2], off offset:1248
	global_load_b128 v[128:131], v[1:2], off offset:1264
	ds_load_b128 v[1:4], v236 offset:3744
	ds_load_b128 v[10:13], v236 offset:5616
	;; [unrolled: 1-line block ×4, first 2 shown]
	s_mov_b32 s21, 0x3fd3c6ef
	v_cmp_lt_u16_e64 s1, 0x4d, v247
	s_wait_alu 0xf1ff
	s_delay_alu instid0(VALU_DEP_1) | instskip(NEXT) | instid1(VALU_DEP_1)
	v_cndmask_b32_e64 v7, 0, 0x186, s1
	v_add_lshl_u32 v253, v0, v7, 4
	s_wait_loadcnt_dscnt 0x303
	v_mul_f64_e32 v[5:6], v[3:4], v[134:135]
	v_mul_f64_e32 v[22:23], v[1:2], v[134:135]
	s_wait_loadcnt_dscnt 0x201
	v_mul_f64_e32 v[24:25], v[16:17], v[126:127]
	s_delay_alu instid0(VALU_DEP_3) | instskip(SKIP_1) | instid1(VALU_DEP_4)
	v_fma_f64 v[26:27], v[1:2], v[132:133], -v[5:6]
	v_mul_f64_e32 v[1:2], v[14:15], v[126:127]
	v_fma_f64 v[28:29], v[3:4], v[132:133], v[22:23]
	s_delay_alu instid0(VALU_DEP_4) | instskip(NEXT) | instid1(VALU_DEP_3)
	v_fma_f64 v[30:31], v[14:15], v[124:125], -v[24:25]
	v_fma_f64 v[32:33], v[16:17], v[124:125], v[1:2]
	ds_load_b128 v[1:4], v236 offset:11232
	ds_load_b128 v[14:17], v236 offset:13104
	s_wait_loadcnt_dscnt 0x101
	v_mul_f64_e32 v[5:6], v[3:4], v[122:123]
	s_delay_alu instid0(VALU_DEP_1) | instskip(SKIP_1) | instid1(VALU_DEP_2)
	v_fma_f64 v[34:35], v[1:2], v[120:121], -v[5:6]
	v_mul_f64_e32 v[1:2], v[1:2], v[122:123]
	v_add_f64_e64 v[180:181], v[30:31], -v[34:35]
	s_delay_alu instid0(VALU_DEP_2)
	v_fma_f64 v[36:37], v[3:4], v[120:121], v[1:2]
	ds_load_b128 v[1:4], v236 offset:14976
	ds_load_b128 v[22:25], v236 offset:16848
	s_wait_loadcnt_dscnt 0x1
	v_mul_f64_e32 v[5:6], v[3:4], v[130:131]
	v_add_f64_e64 v[176:177], v[32:33], -v[36:37]
	s_delay_alu instid0(VALU_DEP_2) | instskip(SKIP_1) | instid1(VALU_DEP_2)
	v_fma_f64 v[38:39], v[1:2], v[128:129], -v[5:6]
	v_mul_f64_e32 v[1:2], v[1:2], v[130:131]
	v_add_f64_e64 v[178:179], v[26:27], -v[38:39]
	s_delay_alu instid0(VALU_DEP_2) | instskip(SKIP_1) | instid1(VALU_DEP_1)
	v_fma_f64 v[152:153], v[3:4], v[128:129], v[1:2]
	v_lshrrev_b16 v1, 1, v255
	v_and_b32_e32 v1, 0x7f, v1
	s_delay_alu instid0(VALU_DEP_1) | instskip(NEXT) | instid1(VALU_DEP_1)
	v_mul_lo_u16 v1, 0xd3, v1
	v_lshrrev_b16 v1, 13, v1
	s_delay_alu instid0(VALU_DEP_1) | instskip(SKIP_1) | instid1(VALU_DEP_2)
	v_mul_lo_u16 v2, 0x4e, v1
	v_and_b32_e32 v0, 0xffff, v1
	v_sub_nc_u16 v2, v255, v2
	s_delay_alu instid0(VALU_DEP_2) | instskip(NEXT) | instid1(VALU_DEP_2)
	v_mul_u32_u24_e32 v0, 0x186, v0
	v_and_b32_e32 v2, 0xff, v2
	s_delay_alu instid0(VALU_DEP_1)
	v_lshlrev_b32_e32 v5, 6, v2
	s_clause 0x3
	global_load_b128 v[140:143], v5, s[10:11] offset:1232
	global_load_b128 v[136:139], v5, s[10:11] offset:1216
	;; [unrolled: 1-line block ×4, first 2 shown]
	v_add_f64_e64 v[5:6], v[38:39], -v[34:35]
	v_add_f64_e64 v[174:175], v[28:29], -v[152:153]
	v_add_lshl_u32 v252, v0, v2, 4
	v_add_co_u32 v0, s1, s8, v236
	s_wait_alu 0xf1ff
	v_add_co_ci_u32_e64 v1, null, s9, 0, s1
	s_wait_loadcnt 0x3
	v_mul_f64_e32 v[3:4], v[20:21], v[142:143]
	s_delay_alu instid0(VALU_DEP_1) | instskip(SKIP_1) | instid1(VALU_DEP_1)
	v_fma_f64 v[154:155], v[18:19], v[140:141], -v[3:4]
	v_mul_f64_e32 v[3:4], v[18:19], v[142:143]
	v_fma_f64 v[156:157], v[20:21], v[140:141], v[3:4]
	s_wait_loadcnt 0x1
	v_mul_f64_e32 v[3:4], v[16:17], v[150:151]
	s_delay_alu instid0(VALU_DEP_1) | instskip(SKIP_2) | instid1(VALU_DEP_2)
	v_fma_f64 v[158:159], v[14:15], v[148:149], -v[3:4]
	v_mul_f64_e32 v[3:4], v[14:15], v[150:151]
	v_add_f64_e32 v[14:15], v[30:31], v[34:35]
	v_fma_f64 v[164:165], v[16:17], v[148:149], v[3:4]
	v_mul_f64_e32 v[3:4], v[12:13], v[138:139]
	s_delay_alu instid0(VALU_DEP_1) | instskip(SKIP_1) | instid1(VALU_DEP_1)
	v_fma_f64 v[166:167], v[10:11], v[136:137], -v[3:4]
	v_mul_f64_e32 v[3:4], v[10:11], v[138:139]
	v_fma_f64 v[168:169], v[12:13], v[136:137], v[3:4]
	s_wait_loadcnt_dscnt 0x0
	v_mul_f64_e32 v[3:4], v[24:25], v[146:147]
	s_delay_alu instid0(VALU_DEP_1) | instskip(SKIP_1) | instid1(VALU_DEP_1)
	v_fma_f64 v[170:171], v[22:23], v[144:145], -v[3:4]
	v_mul_f64_e32 v[3:4], v[22:23], v[146:147]
	v_fma_f64 v[172:173], v[24:25], v[144:145], v[3:4]
	v_add_f64_e64 v[3:4], v[26:27], -v[30:31]
	s_delay_alu instid0(VALU_DEP_1) | instskip(SKIP_2) | instid1(VALU_DEP_1)
	v_add_f64_e32 v[18:19], v[3:4], v[5:6]
	v_add_f64_e64 v[3:4], v[28:29], -v[32:33]
	v_add_f64_e64 v[5:6], v[152:153], -v[36:37]
	v_add_f64_e32 v[20:21], v[3:4], v[5:6]
	ds_load_b128 v[3:6], v236
	ds_load_b128 v[10:13], v236 offset:1872
	global_wb scope:SCOPE_SE
	s_wait_dscnt 0x0
	s_barrier_signal -1
	s_barrier_wait -1
	global_inv scope:SCOPE_SE
	v_fma_f64 v[22:23], v[14:15], -0.5, v[3:4]
	v_add_f64_e32 v[14:15], v[32:33], v[36:37]
	s_delay_alu instid0(VALU_DEP_1) | instskip(NEXT) | instid1(VALU_DEP_3)
	v_fma_f64 v[24:25], v[14:15], -0.5, v[5:6]
	v_fma_f64 v[14:15], v[174:175], s[16:17], v[22:23]
	v_fma_f64 v[22:23], v[174:175], s[18:19], v[22:23]
	s_delay_alu instid0(VALU_DEP_3) | instskip(NEXT) | instid1(VALU_DEP_3)
	v_fma_f64 v[16:17], v[178:179], s[18:19], v[24:25]
	v_fma_f64 v[14:15], v[176:177], s[12:13], v[14:15]
	v_fma_f64 v[24:25], v[178:179], s[16:17], v[24:25]
	s_wait_alu 0xfffe
	s_delay_alu instid0(VALU_DEP_4) | instskip(NEXT) | instid1(VALU_DEP_4)
	v_fma_f64 v[22:23], v[176:177], s[14:15], v[22:23]
	v_fma_f64 v[16:17], v[180:181], s[14:15], v[16:17]
	s_delay_alu instid0(VALU_DEP_4) | instskip(NEXT) | instid1(VALU_DEP_4)
	v_fma_f64 v[14:15], v[18:19], s[20:21], v[14:15]
	v_fma_f64 v[24:25], v[180:181], s[12:13], v[24:25]
	s_delay_alu instid0(VALU_DEP_4) | instskip(SKIP_2) | instid1(VALU_DEP_4)
	v_fma_f64 v[18:19], v[18:19], s[20:21], v[22:23]
	v_add_f64_e32 v[22:23], v[26:27], v[38:39]
	v_fma_f64 v[16:17], v[20:21], s[20:21], v[16:17]
	v_fma_f64 v[20:21], v[20:21], s[20:21], v[24:25]
	v_add_f64_e32 v[24:25], v[28:29], v[152:153]
	s_delay_alu instid0(VALU_DEP_4) | instskip(SKIP_2) | instid1(VALU_DEP_4)
	v_fma_f64 v[22:23], v[22:23], -0.5, v[3:4]
	v_add_f64_e32 v[3:4], v[3:4], v[26:27]
	v_add_f64_e64 v[26:27], v[30:31], -v[26:27]
	v_fma_f64 v[24:25], v[24:25], -0.5, v[5:6]
	v_add_f64_e32 v[5:6], v[5:6], v[28:29]
	s_delay_alu instid0(VALU_DEP_4) | instskip(SKIP_2) | instid1(VALU_DEP_4)
	v_add_f64_e32 v[3:4], v[3:4], v[30:31]
	v_add_f64_e64 v[28:29], v[32:33], -v[28:29]
	v_add_f64_e64 v[30:31], v[34:35], -v[38:39]
	v_add_f64_e32 v[5:6], v[5:6], v[32:33]
	s_delay_alu instid0(VALU_DEP_4)
	v_add_f64_e32 v[3:4], v[3:4], v[34:35]
	v_add_f64_e64 v[32:33], v[36:37], -v[152:153]
	v_fma_f64 v[34:35], v[176:177], s[18:19], v[22:23]
	v_fma_f64 v[22:23], v[176:177], s[16:17], v[22:23]
	v_add_f64_e32 v[26:27], v[26:27], v[30:31]
	v_add_f64_e64 v[176:177], v[168:169], -v[172:173]
	v_add_f64_e32 v[5:6], v[5:6], v[36:37]
	v_fma_f64 v[36:37], v[180:181], s[16:17], v[24:25]
	v_add_f64_e32 v[28:29], v[28:29], v[32:33]
	v_fma_f64 v[30:31], v[174:175], s[12:13], v[34:35]
	v_fma_f64 v[32:33], v[174:175], s[14:15], v[22:23]
	;; [unrolled: 1-line block ×3, first 2 shown]
	v_add_f64_e32 v[3:4], v[3:4], v[38:39]
	v_add_f64_e64 v[174:175], v[156:157], -v[164:165]
	v_add_f64_e64 v[180:181], v[166:167], -v[170:171]
	v_add_f64_e32 v[5:6], v[5:6], v[152:153]
	v_fma_f64 v[34:35], v[178:179], s[14:15], v[36:37]
	v_fma_f64 v[22:23], v[26:27], s[20:21], v[30:31]
	;; [unrolled: 1-line block ×3, first 2 shown]
	v_add_f64_e64 v[30:31], v[154:155], -v[166:167]
	v_add_f64_e64 v[32:33], v[158:159], -v[170:171]
	v_fma_f64 v[36:37], v[178:179], s[12:13], v[24:25]
	v_add_f64_e64 v[178:179], v[154:155], -v[158:159]
	v_fma_f64 v[24:25], v[28:29], s[20:21], v[34:35]
	s_delay_alu instid0(VALU_DEP_4)
	v_add_f64_e32 v[34:35], v[30:31], v[32:33]
	v_add_f64_e64 v[30:31], v[156:157], -v[168:169]
	v_add_f64_e64 v[32:33], v[164:165], -v[172:173]
	v_fma_f64 v[28:29], v[28:29], s[20:21], v[36:37]
	ds_store_b128 v253, v[3:6]
	ds_store_b128 v253, v[14:17] offset:1248
	ds_store_b128 v253, v[22:25] offset:2496
	;; [unrolled: 1-line block ×4, first 2 shown]
	v_add_f64_e32 v[36:37], v[30:31], v[32:33]
	v_add_f64_e32 v[30:31], v[166:167], v[170:171]
	s_delay_alu instid0(VALU_DEP_1) | instskip(SKIP_1) | instid1(VALU_DEP_1)
	v_fma_f64 v[38:39], v[30:31], -0.5, v[10:11]
	v_add_f64_e32 v[30:31], v[168:169], v[172:173]
	v_fma_f64 v[152:153], v[30:31], -0.5, v[12:13]
	s_delay_alu instid0(VALU_DEP_3) | instskip(SKIP_1) | instid1(VALU_DEP_3)
	v_fma_f64 v[30:31], v[174:175], s[18:19], v[38:39]
	v_fma_f64 v[38:39], v[174:175], s[16:17], v[38:39]
	;; [unrolled: 1-line block ×4, first 2 shown]
	s_delay_alu instid0(VALU_DEP_4) | instskip(NEXT) | instid1(VALU_DEP_4)
	v_fma_f64 v[30:31], v[176:177], s[12:13], v[30:31]
	v_fma_f64 v[38:39], v[176:177], s[14:15], v[38:39]
	s_delay_alu instid0(VALU_DEP_4) | instskip(NEXT) | instid1(VALU_DEP_4)
	v_fma_f64 v[32:33], v[180:181], s[14:15], v[32:33]
	v_fma_f64 v[152:153], v[180:181], s[12:13], v[152:153]
	;; [unrolled: 3-line block ×3, first 2 shown]
	v_add_f64_e32 v[38:39], v[154:155], v[158:159]
	v_fma_f64 v[32:33], v[36:37], s[20:21], v[32:33]
	v_fma_f64 v[36:37], v[36:37], s[20:21], v[152:153]
	v_add_f64_e32 v[152:153], v[156:157], v[164:165]
	s_delay_alu instid0(VALU_DEP_4) | instskip(SKIP_2) | instid1(VALU_DEP_4)
	v_fma_f64 v[38:39], v[38:39], -0.5, v[10:11]
	v_add_f64_e32 v[10:11], v[10:11], v[166:167]
	v_add_f64_e64 v[166:167], v[166:167], -v[154:155]
	v_fma_f64 v[152:153], v[152:153], -0.5, v[12:13]
	v_add_f64_e32 v[12:13], v[12:13], v[168:169]
	s_delay_alu instid0(VALU_DEP_4) | instskip(SKIP_1) | instid1(VALU_DEP_4)
	v_add_f64_e32 v[10:11], v[10:11], v[154:155]
	v_add_f64_e64 v[154:155], v[168:169], -v[156:157]
	v_fma_f64 v[168:169], v[180:181], s[18:19], v[152:153]
	s_delay_alu instid0(VALU_DEP_4)
	v_add_f64_e32 v[12:13], v[12:13], v[156:157]
	v_add_f64_e64 v[156:157], v[170:171], -v[158:159]
	v_add_f64_e32 v[10:11], v[10:11], v[158:159]
	v_add_f64_e64 v[158:159], v[172:173], -v[164:165]
	v_fma_f64 v[152:153], v[180:181], s[16:17], v[152:153]
	v_add_f64_e32 v[12:13], v[12:13], v[164:165]
	v_fma_f64 v[164:165], v[176:177], s[16:17], v[38:39]
	v_fma_f64 v[38:39], v[176:177], s[18:19], v[38:39]
	v_add_f64_e32 v[156:157], v[166:167], v[156:157]
	v_add_f64_e32 v[158:159], v[154:155], v[158:159]
	v_fma_f64 v[166:167], v[178:179], s[12:13], v[152:153]
	v_add_f64_e32 v[10:11], v[10:11], v[170:171]
	v_add_f64_e32 v[12:13], v[12:13], v[172:173]
	v_fma_f64 v[154:155], v[174:175], s[12:13], v[164:165]
	v_fma_f64 v[38:39], v[174:175], s[14:15], v[38:39]
	;; [unrolled: 1-line block ×4, first 2 shown]
	s_delay_alu instid0(VALU_DEP_4) | instskip(NEXT) | instid1(VALU_DEP_4)
	v_fma_f64 v[152:153], v[156:157], s[20:21], v[154:155]
	v_fma_f64 v[200:201], v[156:157], s[20:21], v[38:39]
	s_delay_alu instid0(VALU_DEP_4)
	v_fma_f64 v[154:155], v[158:159], s[20:21], v[164:165]
	ds_store_b128 v252, v[10:13]
	ds_store_b128 v252, v[152:155] offset:1248
	ds_store_b128 v252, v[30:33] offset:2496
	;; [unrolled: 1-line block ×4, first 2 shown]
	global_wb scope:SCOPE_SE
	s_wait_dscnt 0x0
	s_barrier_signal -1
	s_barrier_wait -1
	global_inv scope:SCOPE_SE
	ds_load_b128 v[204:207], v236
	ds_load_b128 v[196:199], v236 offset:1872
	ds_load_b128 v[180:183], v236 offset:12480
	;; [unrolled: 1-line block ×8, first 2 shown]
	s_and_saveexec_b32 s1, vcc_lo
	s_cbranch_execz .LBB0_11
; %bb.10:
	ds_load_b128 v[200:203], v236 offset:5616
	ds_load_b128 v[188:191], v236 offset:11856
	;; [unrolled: 1-line block ×3, first 2 shown]
.LBB0_11:
	s_wait_alu 0xfffe
	s_or_b32 exec_lo, exec_lo, s1
	scratch_load_b32 v2, off, off           ; 4-byte Folded Reload
	s_mov_b32 s13, 0xbfebb67a
	s_wait_loadcnt 0x0
	s_clause 0x1
	global_load_b128 v[164:167], v2, s[10:11] offset:6208
	global_load_b128 v[168:171], v2, s[10:11] offset:6224
	s_wait_loadcnt_dscnt 0x101
	v_mul_f64_e32 v[2:3], v[178:179], v[166:167]
	s_delay_alu instid0(VALU_DEP_1) | instskip(SKIP_1) | instid1(VALU_DEP_2)
	v_fma_f64 v[14:15], v[176:177], v[164:165], -v[2:3]
	v_mul_f64_e32 v[2:3], v[176:177], v[166:167]
	v_add_f64_e32 v[32:33], v[208:209], v[14:15]
	s_delay_alu instid0(VALU_DEP_2) | instskip(SKIP_2) | instid1(VALU_DEP_2)
	v_fma_f64 v[10:11], v[178:179], v[164:165], v[2:3]
	s_wait_loadcnt_dscnt 0x0
	v_mul_f64_e32 v[2:3], v[174:175], v[170:171]
	v_add_f64_e32 v[30:31], v[210:211], v[10:11]
	s_delay_alu instid0(VALU_DEP_2) | instskip(SKIP_1) | instid1(VALU_DEP_2)
	v_fma_f64 v[16:17], v[172:173], v[168:169], -v[2:3]
	v_mul_f64_e32 v[2:3], v[172:173], v[170:171]
	v_add_f64_e32 v[18:19], v[14:15], v[16:17]
	s_delay_alu instid0(VALU_DEP_2)
	v_fma_f64 v[12:13], v[174:175], v[168:169], v[2:3]
	v_lshlrev_b32_e32 v2, 4, v9
	s_clause 0x1
	global_load_b128 v[172:175], v2, s[10:11] offset:6208
	global_load_b128 v[176:179], v2, s[10:11] offset:6224
	v_fma_f64 v[18:19], v[18:19], -0.5, v[208:209]
	v_add_f64_e32 v[20:21], v[10:11], v[12:13]
	s_delay_alu instid0(VALU_DEP_1) | instskip(SKIP_2) | instid1(VALU_DEP_1)
	v_fma_f64 v[20:21], v[20:21], -0.5, v[210:211]
	s_wait_loadcnt 0x1
	v_mul_f64_e32 v[2:3], v[186:187], v[174:175]
	v_fma_f64 v[26:27], v[184:185], v[172:173], -v[2:3]
	v_mul_f64_e32 v[2:3], v[184:185], v[174:175]
	s_delay_alu instid0(VALU_DEP_1) | instskip(SKIP_2) | instid1(VALU_DEP_1)
	v_fma_f64 v[22:23], v[186:187], v[172:173], v[2:3]
	s_wait_loadcnt 0x0
	v_mul_f64_e32 v[2:3], v[182:183], v[178:179]
	v_fma_f64 v[28:29], v[180:181], v[176:177], -v[2:3]
	v_mul_f64_e32 v[2:3], v[180:181], v[178:179]
	s_delay_alu instid0(VALU_DEP_1)
	v_fma_f64 v[24:25], v[182:183], v[176:177], v[2:3]
	v_lshlrev_b32_e32 v2, 4, v8
	s_clause 0x1
	global_load_b128 v[180:183], v2, s[10:11] offset:6208
	global_load_b128 v[184:187], v2, s[10:11] offset:6224
	scratch_load_b32 v4, off, off offset:212 th:TH_LOAD_LU ; 4-byte Folded Reload
	s_wait_loadcnt 0x2
	v_mul_f64_e32 v[2:3], v[158:159], v[182:183]
	s_delay_alu instid0(VALU_DEP_1) | instskip(SKIP_1) | instid1(VALU_DEP_1)
	v_fma_f64 v[38:39], v[156:157], v[180:181], -v[2:3]
	v_mul_f64_e32 v[2:3], v[156:157], v[182:183]
	v_fma_f64 v[34:35], v[158:159], v[180:181], v[2:3]
	s_wait_loadcnt 0x1
	v_mul_f64_e32 v[2:3], v[154:155], v[186:187]
	s_delay_alu instid0(VALU_DEP_1) | instskip(SKIP_1) | instid1(VALU_DEP_1)
	v_fma_f64 v[212:213], v[152:153], v[184:185], -v[2:3]
	v_mul_f64_e32 v[2:3], v[152:153], v[186:187]
	v_fma_f64 v[36:37], v[154:155], v[184:185], v[2:3]
	v_add_co_u32 v2, s1, 0xffffffd9, v247
	s_wait_alu 0xf1ff
	v_add_co_ci_u32_e64 v3, null, 0, -1, s1
	s_wait_loadcnt 0x0
	s_delay_alu instid0(VALU_DEP_1) | instskip(NEXT) | instid1(VALU_DEP_1)
	v_dual_cndmask_b32 v2, v2, v214 :: v_dual_cndmask_b32 v3, v3, v4
	v_lshlrev_b64_e32 v[2:3], 5, v[2:3]
	s_delay_alu instid0(VALU_DEP_1) | instskip(SKIP_1) | instid1(VALU_DEP_2)
	v_add_co_u32 v2, s1, s10, v2
	s_wait_alu 0xf1ff
	v_add_co_ci_u32_e64 v3, s1, s11, v3, s1
	s_clause 0x1
	global_load_b128 v[152:155], v[2:3], off offset:6208
	global_load_b128 v[156:159], v[2:3], off offset:6224
	s_mov_b32 s10, 0xe8584caa
	s_mov_b32 s11, 0x3febb67a
	s_wait_alu 0xfffe
	s_mov_b32 s12, s10
	s_wait_loadcnt 0x1
	v_mul_f64_e32 v[2:3], v[190:191], v[154:155]
	v_mul_f64_e32 v[4:5], v[188:189], v[154:155]
	s_wait_loadcnt 0x0
	v_mul_f64_e32 v[6:7], v[192:193], v[158:159]
	s_delay_alu instid0(VALU_DEP_3) | instskip(SKIP_1) | instid1(VALU_DEP_4)
	v_fma_f64 v[2:3], v[188:189], v[152:153], -v[2:3]
	v_add_f64_e64 v[188:189], v[10:11], -v[12:13]
	v_fma_f64 v[8:9], v[190:191], v[152:153], v[4:5]
	v_mul_f64_e32 v[4:5], v[194:195], v[158:159]
	v_add_f64_e32 v[12:13], v[30:31], v[12:13]
	v_add_f64_e32 v[10:11], v[32:33], v[16:17]
	v_add_f64_e64 v[30:31], v[14:15], -v[16:17]
	v_add_f64_e32 v[32:33], v[22:23], v[24:25]
	v_add_f64_e32 v[190:191], v[204:205], v[26:27]
	v_fma_f64 v[6:7], v[194:195], v[156:157], v[6:7]
	v_fma_f64 v[14:15], v[188:189], s[10:11], v[18:19]
	s_wait_alu 0xfffe
	v_fma_f64 v[18:19], v[188:189], s[12:13], v[18:19]
	v_add_f64_e32 v[188:189], v[206:207], v[22:23]
	v_fma_f64 v[4:5], v[192:193], v[156:157], -v[4:5]
	v_add_f64_e64 v[192:193], v[22:23], -v[24:25]
	v_fma_f64 v[16:17], v[30:31], s[12:13], v[20:21]
	v_fma_f64 v[20:21], v[30:31], s[10:11], v[20:21]
	v_add_f64_e32 v[30:31], v[26:27], v[28:29]
	v_fma_f64 v[32:33], v[32:33], -0.5, v[206:207]
	v_add_f64_e32 v[22:23], v[190:191], v[28:29]
	v_add_f64_e32 v[190:191], v[196:197], v[38:39]
	;; [unrolled: 1-line block ×3, first 2 shown]
	v_add_f64_e64 v[188:189], v[26:27], -v[28:29]
	v_fma_f64 v[30:31], v[30:31], -0.5, v[204:205]
	s_delay_alu instid0(VALU_DEP_2)
	v_fma_f64 v[28:29], v[188:189], s[12:13], v[32:33]
	v_fma_f64 v[32:33], v[188:189], s[10:11], v[32:33]
	v_add_f64_e32 v[188:189], v[38:39], v[212:213]
	v_add_f64_e64 v[38:39], v[38:39], -v[212:213]
	v_fma_f64 v[26:27], v[192:193], s[10:11], v[30:31]
	v_fma_f64 v[30:31], v[192:193], s[12:13], v[30:31]
	s_delay_alu instid0(VALU_DEP_4) | instskip(SKIP_2) | instid1(VALU_DEP_2)
	v_fma_f64 v[192:193], v[188:189], -0.5, v[196:197]
	v_add_f64_e32 v[188:189], v[34:35], v[36:37]
	v_add_f64_e64 v[196:197], v[34:35], -v[36:37]
	v_fma_f64 v[194:195], v[188:189], -0.5, v[198:199]
	v_add_f64_e32 v[188:189], v[198:199], v[34:35]
	v_add_f64_e32 v[34:35], v[190:191], v[212:213]
	s_delay_alu instid0(VALU_DEP_4) | instskip(NEXT) | instid1(VALU_DEP_4)
	v_fma_f64 v[204:205], v[196:197], s[10:11], v[192:193]
	v_fma_f64 v[190:191], v[38:39], s[10:11], v[194:195]
	s_delay_alu instid0(VALU_DEP_4)
	v_add_f64_e32 v[36:37], v[188:189], v[36:37]
	v_fma_f64 v[188:189], v[196:197], s[12:13], v[192:193]
	v_fma_f64 v[206:207], v[38:39], s[12:13], v[194:195]
	v_add_f64_e32 v[38:39], v[2:3], v[4:5]
	v_add_f64_e32 v[192:193], v[8:9], v[6:7]
	v_add_f64_e64 v[194:195], v[8:9], -v[6:7]
	ds_store_b128 v236, v[22:25]
	ds_store_b128 v236, v[34:37] offset:1872
	ds_store_b128 v236, v[30:33] offset:12480
	;; [unrolled: 1-line block ×8, first 2 shown]
	scratch_load_b32 v10, off, off offset:8 ; 4-byte Folded Reload
	v_fma_f64 v[38:39], v[38:39], -0.5, v[200:201]
	v_fma_f64 v[198:199], v[192:193], -0.5, v[202:203]
	s_delay_alu instid0(VALU_DEP_2) | instskip(SKIP_2) | instid1(VALU_DEP_1)
	v_fma_f64 v[192:193], v[194:195], s[10:11], v[38:39]
	v_fma_f64 v[196:197], v[194:195], s[12:13], v[38:39]
	v_add_f64_e64 v[38:39], v[2:3], -v[4:5]
	v_fma_f64 v[194:195], v[38:39], s[12:13], v[198:199]
	v_fma_f64 v[198:199], v[38:39], s[10:11], v[198:199]
	s_wait_loadcnt 0x0
	v_add_nc_u32_e32 v10, 0x3a80, v10
	s_and_saveexec_b32 s1, vcc_lo
	s_cbranch_execz .LBB0_13
; %bb.12:
	v_add_f64_e32 v[8:9], v[202:203], v[8:9]
	v_add_f64_e32 v[2:3], v[200:201], v[2:3]
	s_delay_alu instid0(VALU_DEP_2) | instskip(NEXT) | instid1(VALU_DEP_2)
	v_add_f64_e32 v[6:7], v[8:9], v[6:7]
	v_add_f64_e32 v[4:5], v[2:3], v[4:5]
	ds_store_b128 v236, v[4:7] offset:5616
	ds_store_b128 v236, v[192:195] offset:11856
	;; [unrolled: 1-line block ×3, first 2 shown]
.LBB0_13:
	s_wait_alu 0xfffe
	s_or_b32 exec_lo, exec_lo, s1
	global_wb scope:SCOPE_SE
	s_wait_dscnt 0x0
	s_barrier_signal -1
	s_barrier_wait -1
	global_inv scope:SCOPE_SE
	global_load_b128 v[0:3], v[0:1], off offset:18720
	v_lshlrev_b32_e32 v39, 4, v247
	s_add_nc_u64 s[8:9], s[8:9], 0x4920
	s_clause 0x1
	global_load_b128 v[4:7], v39, s[8:9] offset:9360
	global_load_b128 v[11:14], v39, s[8:9] offset:1872
	ds_load_b128 v[15:18], v236
	ds_load_b128 v[19:22], v236 offset:1872
	ds_load_b128 v[27:30], v236 offset:9360
	global_load_b128 v[23:26], v39, s[8:9] offset:11232
	s_wait_loadcnt_dscnt 0x302
	v_mul_f64_e32 v[8:9], v[17:18], v[2:3]
	v_mul_f64_e32 v[2:3], v[15:16], v[2:3]
	s_delay_alu instid0(VALU_DEP_2) | instskip(NEXT) | instid1(VALU_DEP_2)
	v_fma_f64 v[15:16], v[15:16], v[0:1], -v[8:9]
	v_fma_f64 v[17:18], v[17:18], v[0:1], v[2:3]
	ds_load_b128 v[0:3], v236 offset:7488
	s_wait_loadcnt_dscnt 0x201
	v_mul_f64_e32 v[8:9], v[29:30], v[6:7]
	v_mul_f64_e32 v[31:32], v[27:28], v[6:7]
	s_delay_alu instid0(VALU_DEP_2) | instskip(NEXT) | instid1(VALU_DEP_2)
	v_fma_f64 v[6:7], v[27:28], v[4:5], -v[8:9]
	v_fma_f64 v[8:9], v[29:30], v[4:5], v[31:32]
	global_load_b128 v[27:30], v39, s[8:9] offset:3744
	s_wait_loadcnt 0x2
	v_mul_f64_e32 v[4:5], v[21:22], v[13:14]
	v_mul_f64_e32 v[13:14], v[19:20], v[13:14]
	s_delay_alu instid0(VALU_DEP_2) | instskip(NEXT) | instid1(VALU_DEP_2)
	v_fma_f64 v[19:20], v[19:20], v[11:12], -v[4:5]
	v_fma_f64 v[21:22], v[21:22], v[11:12], v[13:14]
	ds_load_b128 v[11:14], v236 offset:11232
	ds_load_b128 v[31:34], v236 offset:13104
	s_wait_loadcnt_dscnt 0x101
	v_mul_f64_e32 v[4:5], v[13:14], v[25:26]
	v_mul_f64_e32 v[25:26], v[11:12], v[25:26]
	s_delay_alu instid0(VALU_DEP_2) | instskip(NEXT) | instid1(VALU_DEP_2)
	v_fma_f64 v[11:12], v[11:12], v[23:24], -v[4:5]
	v_fma_f64 v[13:14], v[13:14], v[23:24], v[25:26]
	ds_load_b128 v[23:26], v236 offset:3744
	ds_load_b128 v[35:38], v236 offset:5616
	s_wait_loadcnt_dscnt 0x1
	v_mul_f64_e32 v[4:5], v[25:26], v[29:30]
	v_mul_f64_e32 v[29:30], v[23:24], v[29:30]
	s_delay_alu instid0(VALU_DEP_2) | instskip(NEXT) | instid1(VALU_DEP_2)
	v_fma_f64 v[23:24], v[23:24], v[27:28], -v[4:5]
	v_fma_f64 v[25:26], v[25:26], v[27:28], v[29:30]
	s_clause 0x1
	global_load_b128 v[27:30], v39, s[8:9] offset:13104
	global_load_b128 v[188:191], v39, s[8:9] offset:14976
	s_wait_loadcnt 0x1
	v_mul_f64_e32 v[4:5], v[33:34], v[29:30]
	v_mul_f64_e32 v[200:201], v[31:32], v[29:30]
	s_delay_alu instid0(VALU_DEP_2) | instskip(NEXT) | instid1(VALU_DEP_2)
	v_fma_f64 v[29:30], v[31:32], v[27:28], -v[4:5]
	v_fma_f64 v[31:32], v[33:34], v[27:28], v[200:201]
	s_clause 0x1
	global_load_b128 v[200:203], v39, s[8:9] offset:5616
	global_load_b128 v[204:207], v39, s[8:9] offset:7488
	s_wait_loadcnt_dscnt 0x100
	v_mul_f64_e32 v[4:5], v[37:38], v[202:203]
	v_mul_f64_e32 v[27:28], v[35:36], v[202:203]
	s_delay_alu instid0(VALU_DEP_2) | instskip(NEXT) | instid1(VALU_DEP_2)
	v_fma_f64 v[33:34], v[35:36], v[200:201], -v[4:5]
	v_fma_f64 v[35:36], v[37:38], v[200:201], v[27:28]
	ds_load_b128 v[200:203], v236 offset:14976
	ds_load_b128 v[208:211], v236 offset:16848
	s_wait_dscnt 0x1
	v_mul_f64_e32 v[4:5], v[202:203], v[190:191]
	v_mul_f64_e32 v[27:28], v[200:201], v[190:191]
	s_delay_alu instid0(VALU_DEP_2) | instskip(NEXT) | instid1(VALU_DEP_2)
	v_fma_f64 v[200:201], v[200:201], v[188:189], -v[4:5]
	v_fma_f64 v[202:203], v[202:203], v[188:189], v[27:28]
	global_load_b128 v[188:191], v39, s[8:9] offset:16848
	s_wait_loadcnt 0x1
	v_mul_f64_e32 v[4:5], v[2:3], v[206:207]
	v_mul_f64_e32 v[27:28], v[0:1], v[206:207]
	s_delay_alu instid0(VALU_DEP_2) | instskip(NEXT) | instid1(VALU_DEP_2)
	v_fma_f64 v[0:1], v[0:1], v[204:205], -v[4:5]
	v_fma_f64 v[2:3], v[2:3], v[204:205], v[27:28]
	s_wait_loadcnt_dscnt 0x0
	v_mul_f64_e32 v[4:5], v[210:211], v[190:191]
	v_mul_f64_e32 v[27:28], v[208:209], v[190:191]
	s_delay_alu instid0(VALU_DEP_2) | instskip(NEXT) | instid1(VALU_DEP_2)
	v_fma_f64 v[204:205], v[208:209], v[188:189], -v[4:5]
	v_fma_f64 v[206:207], v[210:211], v[188:189], v[27:28]
	ds_store_b128 v236, v[15:18]
	ds_store_b128 v236, v[19:22] offset:1872
	ds_store_b128 v236, v[11:14] offset:11232
	;; [unrolled: 1-line block ×9, first 2 shown]
	global_wb scope:SCOPE_SE
	s_wait_dscnt 0x0
	s_barrier_signal -1
	s_barrier_wait -1
	global_inv scope:SCOPE_SE
	ds_load_b128 v[0:3], v236 offset:9360
	ds_load_b128 v[4:7], v236
	ds_load_b128 v[11:14], v236 offset:1872
	ds_load_b128 v[15:18], v236 offset:11232
	;; [unrolled: 1-line block ×6, first 2 shown]
	s_wait_dscnt 0x6
	v_add_f64_e64 v[232:233], v[4:5], -v[0:1]
	v_add_f64_e64 v[234:235], v[6:7], -v[2:3]
	s_wait_dscnt 0x4
	v_add_f64_e64 v[224:225], v[11:12], -v[15:16]
	v_add_f64_e64 v[226:227], v[13:14], -v[17:18]
	ds_load_b128 v[0:3], v236 offset:14976
	ds_load_b128 v[15:18], v236 offset:16848
	global_wb scope:SCOPE_SE
	s_wait_dscnt 0x0
	s_barrier_signal -1
	s_barrier_wait -1
	global_inv scope:SCOPE_SE
	v_add_f64_e64 v[208:209], v[23:24], -v[19:20]
	v_add_f64_e64 v[210:211], v[25:26], -v[21:22]
	;; [unrolled: 1-line block ×3, first 2 shown]
	scratch_load_b32 v0, off, off offset:8 th:TH_LOAD_LU ; 4-byte Folded Reload
	v_add_f64_e64 v[202:203], v[29:30], -v[2:3]
	v_add_f64_e64 v[220:221], v[31:32], -v[15:16]
	;; [unrolled: 1-line block ×3, first 2 shown]
	v_fma_f64 v[188:189], v[4:5], 2.0, -v[232:233]
	v_fma_f64 v[190:191], v[6:7], 2.0, -v[234:235]
	;; [unrolled: 1-line block ×4, first 2 shown]
	s_wait_loadcnt 0x0
	ds_store_b128 v0, v[232:235] offset:16
	ds_store_b128 v0, v[188:191]
	scratch_load_b32 v0, off, off offset:204 th:TH_LOAD_LU ; 4-byte Folded Reload
	v_fma_f64 v[216:217], v[23:24], 2.0, -v[208:209]
	v_fma_f64 v[218:219], v[25:26], 2.0, -v[210:211]
	;; [unrolled: 1-line block ×6, first 2 shown]
	s_wait_loadcnt 0x0
	ds_store_b128 v0, v[228:231]
	ds_store_b128 v0, v[224:227] offset:16
	scratch_load_b32 v0, off, off th:TH_LOAD_LU ; 4-byte Folded Reload
	s_wait_loadcnt 0x0
	ds_store_b128 v0, v[216:219]
	ds_store_b128 v0, v[208:211] offset:16
	scratch_load_b32 v0, off, off offset:196 th:TH_LOAD_LU ; 4-byte Folded Reload
	s_wait_loadcnt 0x0
	ds_store_b128 v0, v[204:207]
	ds_store_b128 v0, v[200:203] offset:16
	ds_store_b128 v10, v[212:215]
	ds_store_b128 v10, v[220:223] offset:16
	global_wb scope:SCOPE_SE
	s_wait_dscnt 0x0
	s_barrier_signal -1
	s_barrier_wait -1
	global_inv scope:SCOPE_SE
	s_and_saveexec_b32 s1, s0
	s_cbranch_execz .LBB0_15
; %bb.14:
	ds_load_b128 v[188:191], v236
	ds_load_b128 v[232:235], v236 offset:1440
	ds_load_b128 v[228:231], v236 offset:2880
	ds_load_b128 v[224:227], v236 offset:4320
	ds_load_b128 v[216:219], v236 offset:5760
	ds_load_b128 v[208:211], v236 offset:7200
	ds_load_b128 v[204:207], v236 offset:8640
	ds_load_b128 v[200:203], v236 offset:10080
	ds_load_b128 v[212:215], v236 offset:11520
	ds_load_b128 v[220:223], v236 offset:12960
	ds_load_b128 v[192:195], v236 offset:14400
	ds_load_b128 v[196:199], v236 offset:15840
	ds_load_b128 v[160:163], v236 offset:17280
.LBB0_15:
	s_wait_alu 0xfffe
	s_or_b32 exec_lo, exec_lo, s1
	s_wait_dscnt 0xb
	v_mul_f64_e32 v[0:1], v[42:43], v[232:233]
	s_mov_b32 s18, 0x42a4c3d2
	s_mov_b32 s19, 0xbfea55e2
	;; [unrolled: 1-line block ×19, first 2 shown]
	s_wait_alu 0xfffe
	s_mov_b32 s30, s24
	s_mov_b32 s22, 0xebaa3ed8
	;; [unrolled: 1-line block ×15, first 2 shown]
	s_delay_alu instid0(VALU_DEP_1) | instskip(SKIP_1) | instid1(VALU_DEP_1)
	v_fma_f64 v[237:238], v[40:41], v[234:235], -v[0:1]
	v_mul_f64_e32 v[0:1], v[42:43], v[234:235]
	v_fma_f64 v[234:235], v[40:41], v[232:233], v[0:1]
	s_wait_dscnt 0x0
	v_mul_f64_e32 v[0:1], v[86:87], v[160:161]
	s_delay_alu instid0(VALU_DEP_1) | instskip(SKIP_1) | instid1(VALU_DEP_1)
	v_fma_f64 v[254:255], v[84:85], v[162:163], -v[0:1]
	v_mul_f64_e32 v[0:1], v[86:87], v[162:163]
	v_fma_f64 v[162:163], v[84:85], v[160:161], v[0:1]
	v_mul_f64_e32 v[0:1], v[70:71], v[228:229]
	s_delay_alu instid0(VALU_DEP_4) | instskip(NEXT) | instid1(VALU_DEP_2)
	v_add_f64_e32 v[160:161], v[237:238], v[254:255]
	v_fma_f64 v[4:5], v[68:69], v[230:231], -v[0:1]
	v_mul_f64_e32 v[0:1], v[70:71], v[230:231]
	v_add_f64_e64 v[70:71], v[237:238], -v[254:255]
	s_delay_alu instid0(VALU_DEP_4) | instskip(NEXT) | instid1(VALU_DEP_3)
	v_mul_f64_e32 v[243:244], s[8:9], v[160:161]
	v_fma_f64 v[10:11], v[68:69], v[228:229], v[0:1]
	v_mul_f64_e32 v[0:1], v[78:79], v[196:197]
	v_add_f64_e32 v[68:69], v[234:235], v[162:163]
	v_mul_f64_e32 v[241:242], s[24:25], v[70:71]
	s_delay_alu instid0(VALU_DEP_3) | instskip(SKIP_3) | instid1(VALU_DEP_2)
	v_fma_f64 v[6:7], v[76:77], v[198:199], -v[0:1]
	v_mul_f64_e32 v[0:1], v[78:79], v[198:199]
	s_wait_alu 0xfffe
	v_mul_f64_e32 v[78:79], s[22:23], v[160:161]
	v_fma_f64 v[8:9], v[76:77], v[196:197], v[0:1]
	v_mul_f64_e32 v[0:1], v[58:59], v[224:225]
	v_add_f64_e64 v[76:77], v[234:235], -v[162:163]
	v_add_f64_e32 v[196:197], v[4:5], v[6:7]
	s_delay_alu instid0(VALU_DEP_3) | instskip(SKIP_2) | instid1(VALU_DEP_2)
	v_fma_f64 v[12:13], v[56:57], v[226:227], -v[0:1]
	v_mul_f64_e32 v[0:1], v[58:59], v[226:227]
	v_mul_f64_e32 v[58:59], s[10:11], v[160:161]
	v_fma_f64 v[16:17], v[56:57], v[224:225], v[0:1]
	v_mul_f64_e32 v[0:1], v[66:67], v[192:193]
	v_mul_f64_e32 v[56:57], s[18:19], v[70:71]
	s_delay_alu instid0(VALU_DEP_2) | instskip(SKIP_1) | instid1(VALU_DEP_1)
	v_fma_f64 v[14:15], v[64:65], v[194:195], -v[0:1]
	v_mul_f64_e32 v[0:1], v[66:67], v[194:195]
	v_fma_f64 v[66:67], v[64:65], v[192:193], v[0:1]
	v_mul_f64_e32 v[0:1], v[46:47], v[216:217]
	v_mul_f64_e32 v[64:65], s[14:15], v[70:71]
	s_delay_alu instid0(VALU_DEP_3) | instskip(NEXT) | instid1(VALU_DEP_3)
	v_add_f64_e32 v[198:199], v[16:17], v[66:67]
	v_fma_f64 v[192:193], v[44:45], v[218:219], -v[0:1]
	v_mul_f64_e32 v[0:1], v[46:47], v[218:219]
	s_delay_alu instid0(VALU_DEP_1) | instskip(SKIP_2) | instid1(VALU_DEP_2)
	v_fma_f64 v[18:19], v[44:45], v[216:217], v[0:1]
	v_mul_f64_e32 v[0:1], v[62:63], v[220:221]
	v_add_f64_e64 v[216:217], v[16:17], -v[66:67]
	v_fma_f64 v[194:195], v[60:61], v[222:223], -v[0:1]
	v_mul_f64_e32 v[0:1], v[62:63], v[222:223]
	s_delay_alu instid0(VALU_DEP_1) | instskip(SKIP_1) | instid1(VALU_DEP_2)
	v_fma_f64 v[60:61], v[60:61], v[220:221], v[0:1]
	v_mul_f64_e32 v[0:1], v[50:51], v[208:209]
	v_add_f64_e64 v[226:227], v[18:19], -v[60:61]
	s_delay_alu instid0(VALU_DEP_2) | instskip(SKIP_2) | instid1(VALU_DEP_2)
	v_fma_f64 v[62:63], v[48:49], v[210:211], -v[0:1]
	v_mul_f64_e32 v[0:1], v[50:51], v[210:211]
	v_add_f64_e32 v[210:211], v[192:193], v[194:195]
	v_fma_f64 v[22:23], v[48:49], v[208:209], v[0:1]
	v_mul_f64_e32 v[0:1], v[82:83], v[212:213]
	v_add_f64_e64 v[208:209], v[10:11], -v[8:9]
	s_delay_alu instid0(VALU_DEP_2) | instskip(SKIP_1) | instid1(VALU_DEP_2)
	v_fma_f64 v[20:21], v[80:81], v[214:215], -v[0:1]
	v_mul_f64_e32 v[0:1], v[82:83], v[214:215]
	v_add_f64_e64 v[224:225], v[62:63], -v[20:21]
	s_delay_alu instid0(VALU_DEP_2) | instskip(SKIP_3) | instid1(VALU_DEP_4)
	v_fma_f64 v[80:81], v[80:81], v[212:213], v[0:1]
	v_mul_f64_e32 v[0:1], v[54:55], v[204:205]
	v_add_f64_e64 v[212:213], v[192:193], -v[194:195]
	v_add_f64_e32 v[218:219], v[62:63], v[20:21]
	v_add_f64_e32 v[214:215], v[22:23], v[80:81]
	s_delay_alu instid0(VALU_DEP_4) | instskip(SKIP_4) | instid1(VALU_DEP_4)
	v_fma_f64 v[82:83], v[52:53], v[206:207], -v[0:1]
	v_mul_f64_e32 v[0:1], v[54:55], v[206:207]
	v_add_f64_e64 v[206:207], v[12:13], -v[14:15]
	v_add_f64_e64 v[228:229], v[22:23], -v[80:81]
	v_mul_f64_e32 v[86:87], s[12:13], v[218:219]
	v_fma_f64 v[52:53], v[52:53], v[204:205], v[0:1]
	v_mul_f64_e32 v[0:1], v[74:75], v[200:201]
	v_add_f64_e64 v[204:205], v[4:5], -v[6:7]
	s_delay_alu instid0(VALU_DEP_2) | instskip(SKIP_1) | instid1(VALU_DEP_3)
	v_fma_f64 v[54:55], v[72:73], v[202:203], -v[0:1]
	v_mul_f64_e32 v[0:1], v[74:75], v[202:203]
	v_mul_f64_e32 v[2:3], s[14:15], v[204:205]
	v_add_f64_e32 v[202:203], v[18:19], v[60:61]
	s_delay_alu instid0(VALU_DEP_4) | instskip(NEXT) | instid1(VALU_DEP_4)
	v_add_f64_e64 v[230:231], v[82:83], -v[54:55]
	v_fma_f64 v[74:75], v[72:73], v[200:201], v[0:1]
	v_fma_f64 v[0:1], v[68:69], s[10:11], -v[56:57]
	v_add_f64_e32 v[72:73], v[10:11], v[8:9]
	s_clause 0x2
	scratch_store_b64 off, v[2:3], off offset:260
	scratch_store_b64 off, v[4:5], off
	scratch_store_b64 off, v[6:7], off offset:8
	v_mul_f64_e32 v[4:5], s[8:9], v[196:197]
	s_clause 0x1
	scratch_store_b64 off, v[8:9], off offset:196
	scratch_store_b64 off, v[10:11], off offset:204
	v_add_f64_e32 v[200:201], v[12:13], v[14:15]
	v_add_f64_e32 v[222:223], v[82:83], v[54:55]
	;; [unrolled: 1-line block ×4, first 2 shown]
	v_fma_f64 v[2:3], v[72:73], s[8:9], -v[2:3]
	v_add_f64_e64 v[239:240], v[52:53], -v[74:75]
	scratch_store_b64 off, v[4:5], off offset:268 ; 8-byte Folded Spill
	v_fma_f64 v[4:5], v[208:209], s[14:15], v[4:5]
	v_mul_f64_e32 v[84:85], s[28:29], v[200:201]
	v_mul_f64_e32 v[232:233], s[10:11], v[222:223]
	v_add_f64_e32 v[0:1], v[2:3], v[0:1]
	v_fma_f64 v[2:3], v[76:77], s[18:19], v[58:59]
	s_delay_alu instid0(VALU_DEP_1) | instskip(NEXT) | instid1(VALU_DEP_1)
	v_add_f64_e32 v[2:3], v[190:191], v[2:3]
	v_add_f64_e32 v[2:3], v[4:5], v[2:3]
	v_mul_f64_e32 v[4:5], s[20:21], v[206:207]
	scratch_store_b64 off, v[4:5], off offset:276 ; 8-byte Folded Spill
	v_fma_f64 v[4:5], v[198:199], s[12:13], -v[4:5]
	s_clause 0x5
	scratch_store_b64 off, v[12:13], off offset:212
	scratch_store_b64 off, v[14:15], off offset:220
	;; [unrolled: 1-line block ×6, first 2 shown]
	v_mul_f64_e32 v[16:17], s[28:29], v[222:223]
	v_mul_f64_e32 v[22:23], s[8:9], v[200:201]
	;; [unrolled: 1-line block ×3, first 2 shown]
	v_add_f64_e32 v[0:1], v[4:5], v[0:1]
	v_mul_f64_e32 v[4:5], s[12:13], v[200:201]
	scratch_store_b64 off, v[4:5], off offset:292 ; 8-byte Folded Spill
	v_fma_f64 v[4:5], v[216:217], s[20:21], v[4:5]
	s_delay_alu instid0(VALU_DEP_1) | instskip(SKIP_3) | instid1(VALU_DEP_1)
	v_add_f64_e32 v[2:3], v[4:5], v[2:3]
	v_mul_f64_e32 v[4:5], s[26:27], v[212:213]
	scratch_store_b64 off, v[4:5], off offset:284 ; 8-byte Folded Spill
	v_fma_f64 v[4:5], v[202:203], s[16:17], -v[4:5]
	v_add_f64_e32 v[0:1], v[4:5], v[0:1]
	v_mul_f64_e32 v[4:5], s[16:17], v[210:211]
	scratch_store_b64 off, v[4:5], off offset:308 ; 8-byte Folded Spill
	v_fma_f64 v[4:5], v[226:227], s[26:27], v[4:5]
	s_delay_alu instid0(VALU_DEP_1)
	v_add_f64_e32 v[2:3], v[4:5], v[2:3]
	v_mul_f64_e32 v[4:5], s[30:31], v[224:225]
	scratch_store_b64 off, v[4:5], off offset:300 ; 8-byte Folded Spill
	v_fma_f64 v[4:5], v[214:215], s[22:23], -v[4:5]
	global_wb scope:SCOPE_SE
	s_wait_storecnt 0x0
	s_barrier_signal -1
	s_barrier_wait -1
	global_inv scope:SCOPE_SE
	v_add_f64_e32 v[0:1], v[4:5], v[0:1]
	v_mul_f64_e32 v[4:5], s[22:23], v[218:219]
	s_delay_alu instid0(VALU_DEP_1) | instskip(NEXT) | instid1(VALU_DEP_1)
	v_fma_f64 v[6:7], v[228:229], s[30:31], v[4:5]
	v_add_f64_e32 v[6:7], v[6:7], v[2:3]
	v_mul_f64_e32 v[2:3], s[42:43], v[230:231]
	s_delay_alu instid0(VALU_DEP_1) | instskip(NEXT) | instid1(VALU_DEP_1)
	v_fma_f64 v[8:9], v[220:221], s[28:29], -v[2:3]
	v_add_f64_e32 v[44:45], v[8:9], v[0:1]
	v_fma_f64 v[0:1], v[239:240], s[42:43], v[16:17]
	s_delay_alu instid0(VALU_DEP_1) | instskip(SKIP_1) | instid1(VALU_DEP_1)
	v_add_f64_e32 v[46:47], v[0:1], v[6:7]
	v_fma_f64 v[0:1], v[68:69], s[22:23], -v[241:242]
	v_add_f64_e32 v[6:7], v[188:189], v[0:1]
	v_mul_f64_e32 v[0:1], s[20:21], v[204:205]
	s_delay_alu instid0(VALU_DEP_1) | instskip(NEXT) | instid1(VALU_DEP_1)
	v_fma_f64 v[8:9], v[72:73], s[12:13], -v[0:1]
	v_add_f64_e32 v[8:9], v[8:9], v[6:7]
	v_fma_f64 v[6:7], v[76:77], s[24:25], v[78:79]
	s_delay_alu instid0(VALU_DEP_1) | instskip(SKIP_1) | instid1(VALU_DEP_1)
	v_add_f64_e32 v[10:11], v[190:191], v[6:7]
	v_mul_f64_e32 v[6:7], s[12:13], v[196:197]
	v_fma_f64 v[12:13], v[208:209], s[20:21], v[6:7]
	s_delay_alu instid0(VALU_DEP_1) | instskip(SKIP_1) | instid1(VALU_DEP_1)
	v_add_f64_e32 v[12:13], v[12:13], v[10:11]
	v_mul_f64_e32 v[10:11], s[38:39], v[206:207]
	v_fma_f64 v[14:15], v[198:199], s[8:9], -v[10:11]
	s_delay_alu instid0(VALU_DEP_1) | instskip(SKIP_1) | instid1(VALU_DEP_1)
	v_add_f64_e32 v[8:9], v[14:15], v[8:9]
	v_fma_f64 v[14:15], v[216:217], s[38:39], v[22:23]
	v_add_f64_e32 v[14:15], v[14:15], v[12:13]
	v_mul_f64_e32 v[12:13], s[42:43], v[212:213]
	s_delay_alu instid0(VALU_DEP_1) | instskip(NEXT) | instid1(VALU_DEP_1)
	v_fma_f64 v[18:19], v[202:203], s[28:29], -v[12:13]
	v_add_f64_e32 v[8:9], v[18:19], v[8:9]
	v_fma_f64 v[18:19], v[226:227], s[42:43], v[20:21]
	s_delay_alu instid0(VALU_DEP_1) | instskip(SKIP_1) | instid1(VALU_DEP_1)
	v_add_f64_e32 v[18:19], v[18:19], v[14:15]
	v_mul_f64_e32 v[14:15], s[18:19], v[224:225]
	v_fma_f64 v[24:25], v[214:215], s[10:11], -v[14:15]
	s_delay_alu instid0(VALU_DEP_1) | instskip(SKIP_1) | instid1(VALU_DEP_1)
	v_add_f64_e32 v[8:9], v[24:25], v[8:9]
	v_mul_f64_e32 v[24:25], s[10:11], v[218:219]
	v_fma_f64 v[26:27], v[228:229], s[18:19], v[24:25]
	s_delay_alu instid0(VALU_DEP_1) | instskip(SKIP_1) | instid1(VALU_DEP_1)
	v_add_f64_e32 v[28:29], v[26:27], v[18:19]
	v_mul_f64_e32 v[18:19], s[34:35], v[230:231]
	v_fma_f64 v[26:27], v[220:221], s[16:17], -v[18:19]
	s_delay_alu instid0(VALU_DEP_1) | instskip(SKIP_1) | instid1(VALU_DEP_1)
	v_add_f64_e32 v[48:49], v[26:27], v[8:9]
	v_mul_f64_e32 v[26:27], s[16:17], v[222:223]
	v_fma_f64 v[8:9], v[239:240], s[34:35], v[26:27]
	s_delay_alu instid0(VALU_DEP_1) | instskip(SKIP_1) | instid1(VALU_DEP_1)
	v_add_f64_e32 v[50:51], v[8:9], v[28:29]
	v_fma_f64 v[8:9], v[68:69], s[8:9], -v[64:65]
	v_add_f64_e32 v[28:29], v[188:189], v[8:9]
	v_mul_f64_e32 v[8:9], s[26:27], v[204:205]
	s_delay_alu instid0(VALU_DEP_1) | instskip(NEXT) | instid1(VALU_DEP_1)
	v_fma_f64 v[30:31], v[72:73], s[16:17], -v[8:9]
	v_add_f64_e32 v[32:33], v[30:31], v[28:29]
	v_fma_f64 v[28:29], v[76:77], s[14:15], v[243:244]
	s_delay_alu instid0(VALU_DEP_1) | instskip(SKIP_1) | instid1(VALU_DEP_1)
	v_add_f64_e32 v[30:31], v[190:191], v[28:29]
	v_mul_f64_e32 v[28:29], s[16:17], v[196:197]
	v_fma_f64 v[34:35], v[208:209], s[26:27], v[28:29]
	s_delay_alu instid0(VALU_DEP_1) | instskip(SKIP_1) | instid1(VALU_DEP_1)
	v_add_f64_e32 v[34:35], v[34:35], v[30:31]
	v_mul_f64_e32 v[30:31], s[42:43], v[206:207]
	v_fma_f64 v[36:37], v[198:199], s[28:29], -v[30:31]
	s_delay_alu instid0(VALU_DEP_1) | instskip(SKIP_1) | instid1(VALU_DEP_1)
	v_add_f64_e32 v[36:37], v[36:37], v[32:33]
	v_fma_f64 v[32:33], v[216:217], s[42:43], v[84:85]
	v_add_f64_e32 v[34:35], v[32:33], v[34:35]
	v_mul_f64_e32 v[32:33], s[24:25], v[212:213]
	s_delay_alu instid0(VALU_DEP_1) | instskip(NEXT) | instid1(VALU_DEP_1)
	v_fma_f64 v[38:39], v[202:203], s[22:23], -v[32:33]
	v_add_f64_e32 v[36:37], v[38:39], v[36:37]
	v_mul_f64_e32 v[38:39], s[22:23], v[210:211]
	s_delay_alu instid0(VALU_DEP_1) | instskip(NEXT) | instid1(VALU_DEP_1)
	v_fma_f64 v[40:41], v[226:227], s[24:25], v[38:39]
	v_add_f64_e32 v[40:41], v[40:41], v[34:35]
	v_mul_f64_e32 v[34:35], s[36:37], v[224:225]
	s_delay_alu instid0(VALU_DEP_1) | instskip(NEXT) | instid1(VALU_DEP_1)
	v_fma_f64 v[42:43], v[214:215], s[12:13], -v[34:35]
	v_add_f64_e32 v[42:43], v[42:43], v[36:37]
	v_fma_f64 v[36:37], v[228:229], s[36:37], v[86:87]
	s_delay_alu instid0(VALU_DEP_1) | instskip(SKIP_1) | instid1(VALU_DEP_1)
	v_add_f64_e32 v[245:246], v[36:37], v[40:41]
	v_mul_f64_e32 v[36:37], s[40:41], v[230:231]
	v_fma_f64 v[40:41], v[220:221], s[10:11], -v[36:37]
	s_delay_alu instid0(VALU_DEP_1) | instskip(SKIP_1) | instid1(VALU_DEP_1)
	v_add_f64_e32 v[40:41], v[40:41], v[42:43]
	v_fma_f64 v[42:43], v[239:240], s[40:41], v[232:233]
	v_add_f64_e32 v[42:43], v[42:43], v[245:246]
	s_and_saveexec_b32 s1, s0
	s_cbranch_execz .LBB0_17
; %bb.16:
	v_mul_f64_e32 v[245:246], s[14:15], v[76:77]
	s_delay_alu instid0(VALU_DEP_1) | instskip(SKIP_1) | instid1(VALU_DEP_2)
	v_add_f64_e64 v[243:244], v[243:244], -v[245:246]
	v_mul_f64_e32 v[245:246], s[8:9], v[68:69]
	v_add_f64_e32 v[243:244], v[190:191], v[243:244]
	s_delay_alu instid0(VALU_DEP_2) | instskip(SKIP_1) | instid1(VALU_DEP_1)
	v_add_f64_e32 v[64:65], v[245:246], v[64:65]
	v_mul_f64_e32 v[245:246], s[24:25], v[76:77]
	v_add_f64_e64 v[78:79], v[78:79], -v[245:246]
	v_mul_f64_e32 v[245:246], s[22:23], v[68:69]
	s_delay_alu instid0(VALU_DEP_1) | instskip(SKIP_1) | instid1(VALU_DEP_2)
	v_add_f64_e32 v[241:242], v[245:246], v[241:242]
	v_mul_f64_e32 v[245:246], s[18:19], v[76:77]
	v_add_f64_e32 v[241:242], v[188:189], v[241:242]
	s_delay_alu instid0(VALU_DEP_2) | instskip(SKIP_1) | instid1(VALU_DEP_1)
	v_add_f64_e64 v[58:59], v[58:59], -v[245:246]
	v_mul_f64_e32 v[245:246], s[10:11], v[68:69]
	v_add_f64_e32 v[56:57], v[245:246], v[56:57]
	v_mul_f64_e32 v[245:246], s[42:43], v[216:217]
	scratch_store_b64 off, v[245:246], off offset:452 ; 8-byte Folded Spill
	v_mul_f64_e32 v[245:246], s[42:43], v[226:227]
	scratch_store_b64 off, v[245:246], off offset:460 ; 8-byte Folded Spill
	v_mul_f64_e32 v[245:246], s[42:43], v[239:240]
	s_clause 0x1
	scratch_store_b64 off, v[245:246], off offset:476
	scratch_store_b64 off, v[8:9], off offset:444
	v_dual_mov_b32 v8, v249 :: v_dual_mov_b32 v9, v250
	v_mul_f64_e32 v[249:250], s[42:43], v[208:209]
	s_clause 0x2
	scratch_store_b64 off, v[66:67], off offset:340
	scratch_store_b64 off, v[60:61], off offset:348
	;; [unrolled: 1-line block ×3, first 2 shown]
	v_mul_f64_e32 v[66:67], s[42:43], v[204:205]
	v_mul_f64_e32 v[60:61], s[42:43], v[228:229]
	scratch_store_b64 off, v[162:163], off offset:332 ; 8-byte Folded Spill
	v_mul_f64_e32 v[162:163], s[42:43], v[224:225]
	s_mov_b32 s43, 0xbfddbe06
	s_clause 0x1
	scratch_store_b64 off, v[62:63], off offset:380
	scratch_store_b64 off, v[192:193], off offset:388
	v_mul_f64_e32 v[62:63], s[20:21], v[76:77]
	v_mul_f64_e32 v[192:193], s[34:35], v[76:77]
	s_wait_alu 0xfffe
	v_mul_f64_e32 v[76:77], s[42:43], v[76:77]
	s_clause 0x3
	scratch_store_b64 off, v[194:195], off offset:372
	scratch_store_b32 off, v251, off offset:316
	scratch_store_b32 off, v252, off offset:324
	scratch_store_b64 off, v[254:255], off offset:364
	v_mov_b32_e32 v255, v248
	v_mul_f64_e32 v[247:248], s[34:35], v[70:71]
	v_dual_mov_b32 v246, v1 :: v_dual_mov_b32 v245, v0
	scratch_store_b64 off, v[10:11], off offset:484 ; 8-byte Folded Spill
	v_mov_b32_e32 v10, v253
	v_fma_f64 v[80:81], v[160:161], s[12:13], v[62:63]
	v_fma_f64 v[62:63], v[160:161], s[12:13], -v[62:63]
	v_fma_f64 v[194:195], v[160:161], s[16:17], v[192:193]
	v_fma_f64 v[192:193], v[160:161], s[16:17], -v[192:193]
	v_fma_f64 v[251:252], v[160:161], s[28:29], v[76:77]
	v_fma_f64 v[76:77], v[160:161], s[28:29], -v[76:77]
	v_mul_f64_e32 v[160:161], s[20:21], v[70:71]
	v_mul_f64_e32 v[70:71], s[42:43], v[70:71]
	v_add_f64_e32 v[62:63], v[190:191], v[62:63]
	v_add_f64_e32 v[194:195], v[190:191], v[194:195]
	v_add_f64_e32 v[251:252], v[190:191], v[251:252]
	v_add_f64_e32 v[76:77], v[190:191], v[76:77]
	v_fma_f64 v[253:254], v[68:69], s[12:13], -v[160:161]
	v_fma_f64 v[0:1], v[68:69], s[28:29], -v[70:71]
	v_fma_f64 v[160:161], v[68:69], s[12:13], v[160:161]
	scratch_store_b64 off, v[194:195], off offset:436 ; 8-byte Folded Spill
	v_add_f64_e32 v[194:195], v[188:189], v[64:65]
	v_add_f64_e32 v[64:65], v[190:191], v[78:79]
	v_dual_mov_b32 v79, v53 :: v_dual_mov_b32 v78, v52
	v_add_f64_e32 v[0:1], v[188:189], v[0:1]
	scratch_store_b64 off, v[82:83], off offset:396 ; 8-byte Folded Spill
	v_fma_f64 v[82:83], v[68:69], s[16:17], -v[247:248]
	v_fma_f64 v[247:248], v[68:69], s[16:17], v[247:248]
	v_fma_f64 v[68:69], v[68:69], s[28:29], v[70:71]
	v_add_f64_e32 v[70:71], v[190:191], v[237:238]
	v_add_f64_e32 v[160:161], v[188:189], v[160:161]
	v_dual_mov_b32 v53, v37 :: v_dual_mov_b32 v52, v36
	v_dual_mov_b32 v37, v33 :: v_dual_mov_b32 v36, v32
	;; [unrolled: 1-line block ×4, first 2 shown]
	scratch_store_b64 off, v[0:1], off offset:420 ; 8-byte Folded Spill
	v_add_f64_e32 v[82:83], v[188:189], v[82:83]
	v_add_f64_e32 v[247:248], v[188:189], v[247:248]
	scratch_store_b64 off, v[70:71], off offset:404 ; 8-byte Folded Spill
	v_add_f64_e32 v[70:71], v[188:189], v[234:235]
	scratch_store_b64 off, v[82:83], off offset:428 ; 8-byte Folded Spill
	v_add_f64_e32 v[82:83], v[190:191], v[192:193]
	v_dual_mov_b32 v193, v31 :: v_dual_mov_b32 v192, v30
	scratch_store_b64 off, v[70:71], off offset:412 ; 8-byte Folded Spill
	v_add_f64_e32 v[70:71], v[190:191], v[80:81]
	v_add_f64_e32 v[80:81], v[188:189], v[253:254]
	v_dual_mov_b32 v31, v25 :: v_dual_mov_b32 v30, v24
	v_dual_mov_b32 v25, v13 :: v_dual_mov_b32 v24, v12
	;; [unrolled: 1-line block ×3, first 2 shown]
	v_add_f64_e32 v[2:3], v[188:189], v[56:57]
	v_add_f64_e32 v[188:189], v[188:189], v[68:69]
	v_fma_f64 v[56:57], v[196:197], s[28:29], v[249:250]
	v_mul_f64_e32 v[68:69], s[34:35], v[216:217]
	v_add_f64_e32 v[253:254], v[190:191], v[58:59]
	v_fma_f64 v[58:59], v[72:73], s[28:29], -v[66:67]
	v_dual_mov_b32 v14, v5 :: v_dual_mov_b32 v13, v4
	v_mul_f64_e32 v[4:5], s[30:31], v[239:240]
	scratch_store_b64 off, v[82:83], off offset:468 ; 8-byte Folded Spill
	v_dual_mov_b32 v83, v55 :: v_dual_mov_b32 v82, v54
	v_dual_mov_b32 v54, v74 :: v_dual_mov_b32 v55, v75
	;; [unrolled: 1-line block ×6, first 2 shown]
	v_mul_f64_e32 v[6:7], s[30:31], v[230:231]
	v_add_f64_e32 v[56:57], v[56:57], v[70:71]
	v_fma_f64 v[70:71], v[200:201], s[16:17], v[68:69]
	v_add_f64_e32 v[58:59], v[58:59], v[80:81]
	s_delay_alu instid0(VALU_DEP_2) | instskip(SKIP_1) | instid1(VALU_DEP_1)
	v_add_f64_e32 v[56:57], v[70:71], v[56:57]
	v_mul_f64_e32 v[70:71], s[34:35], v[206:207]
	v_fma_f64 v[80:81], v[198:199], s[16:17], -v[70:71]
	s_delay_alu instid0(VALU_DEP_1) | instskip(SKIP_1) | instid1(VALU_DEP_1)
	v_add_f64_e32 v[58:59], v[80:81], v[58:59]
	v_mul_f64_e32 v[80:81], s[40:41], v[226:227]
	v_fma_f64 v[190:191], v[210:211], s[10:11], v[80:81]
	s_delay_alu instid0(VALU_DEP_1) | instskip(SKIP_1) | instid1(VALU_DEP_1)
	v_add_f64_e32 v[56:57], v[190:191], v[56:57]
	v_mul_f64_e32 v[190:191], s[40:41], v[212:213]
	v_fma_f64 v[234:235], v[202:203], s[10:11], -v[190:191]
	s_delay_alu instid0(VALU_DEP_1) | instskip(SKIP_1) | instid1(VALU_DEP_1)
	v_add_f64_e32 v[58:59], v[234:235], v[58:59]
	v_mul_f64_e32 v[234:235], s[14:15], v[228:229]
	v_fma_f64 v[237:238], v[218:219], s[8:9], v[234:235]
	s_delay_alu instid0(VALU_DEP_1) | instskip(SKIP_1) | instid1(VALU_DEP_1)
	v_add_f64_e32 v[56:57], v[237:238], v[56:57]
	v_mul_f64_e32 v[237:238], s[14:15], v[224:225]
	v_fma_f64 v[0:1], v[214:215], s[8:9], -v[237:238]
	s_delay_alu instid0(VALU_DEP_1) | instskip(SKIP_2) | instid1(VALU_DEP_2)
	v_add_f64_e32 v[0:1], v[0:1], v[58:59]
	v_fma_f64 v[58:59], v[222:223], s[22:23], v[4:5]
	v_fma_f64 v[4:5], v[222:223], s[22:23], -v[4:5]
	v_add_f64_e32 v[58:59], v[58:59], v[56:57]
	v_fma_f64 v[56:57], v[220:221], s[22:23], -v[6:7]
	v_fma_f64 v[6:7], v[220:221], s[22:23], v[6:7]
	s_delay_alu instid0(VALU_DEP_2)
	v_add_f64_e32 v[56:57], v[56:57], v[0:1]
	v_fma_f64 v[0:1], v[196:197], s[28:29], -v[249:250]
	v_dual_mov_b32 v250, v9 :: v_dual_mov_b32 v249, v8
	scratch_load_b64 v[8:9], off, off offset:276 th:TH_LOAD_LU ; 8-byte Folded Reload
	v_add_f64_e32 v[0:1], v[0:1], v[62:63]
	v_fma_f64 v[62:63], v[72:73], s[28:29], v[66:67]
	v_fma_f64 v[66:67], v[200:201], s[16:17], -v[68:69]
	s_delay_alu instid0(VALU_DEP_2) | instskip(NEXT) | instid1(VALU_DEP_2)
	v_add_f64_e32 v[62:63], v[62:63], v[160:161]
	v_add_f64_e32 v[0:1], v[66:67], v[0:1]
	v_fma_f64 v[66:67], v[198:199], s[16:17], v[70:71]
	s_delay_alu instid0(VALU_DEP_1) | instskip(SKIP_2) | instid1(VALU_DEP_2)
	v_add_f64_e32 v[62:63], v[66:67], v[62:63]
	v_fma_f64 v[66:67], v[210:211], s[10:11], -v[80:81]
	v_mul_f64_e32 v[80:81], s[16:17], v[202:203]
	v_add_f64_e32 v[0:1], v[66:67], v[0:1]
	v_fma_f64 v[66:67], v[202:203], s[10:11], v[190:191]
	s_delay_alu instid0(VALU_DEP_1) | instskip(SKIP_1) | instid1(VALU_DEP_1)
	v_add_f64_e32 v[62:63], v[66:67], v[62:63]
	v_fma_f64 v[66:67], v[218:219], s[8:9], -v[234:235]
	v_add_f64_e32 v[0:1], v[66:67], v[0:1]
	v_fma_f64 v[66:67], v[214:215], s[8:9], v[237:238]
	s_delay_alu instid0(VALU_DEP_2) | instskip(NEXT) | instid1(VALU_DEP_2)
	v_add_f64_e32 v[70:71], v[4:5], v[0:1]
	v_add_f64_e32 v[62:63], v[66:67], v[62:63]
	scratch_load_b64 v[4:5], off, off offset:292 th:TH_LOAD_LU ; 8-byte Folded Reload
	v_mul_f64_e32 v[0:1], s[20:21], v[216:217]
	v_mul_f64_e32 v[66:67], s[26:27], v[226:227]
	v_add_f64_e32 v[68:69], v[6:7], v[62:63]
	scratch_load_b64 v[6:7], off, off offset:268 th:TH_LOAD_LU ; 8-byte Folded Reload
	v_mul_f64_e32 v[62:63], s[8:9], v[72:73]
	s_wait_loadcnt 0x1
	v_add_f64_e64 v[0:1], v[4:5], -v[0:1]
	v_mul_f64_e32 v[4:5], s[14:15], v[208:209]
	s_wait_loadcnt 0x0
	s_delay_alu instid0(VALU_DEP_1) | instskip(SKIP_1) | instid1(VALU_DEP_2)
	v_add_f64_e64 v[4:5], v[6:7], -v[4:5]
	v_mul_f64_e32 v[6:7], s[12:13], v[198:199]
	v_add_f64_e32 v[4:5], v[4:5], v[253:254]
	s_delay_alu instid0(VALU_DEP_2)
	v_add_f64_e32 v[6:7], v[6:7], v[8:9]
	scratch_load_b64 v[8:9], off, off offset:260 th:TH_LOAD_LU ; 8-byte Folded Reload
	v_mov_b32_e32 v253, v10
	v_add_f64_e32 v[0:1], v[0:1], v[4:5]
	v_mul_f64_e32 v[4:5], s[22:23], v[214:215]
	s_wait_loadcnt 0x0
	v_add_f64_e32 v[62:63], v[62:63], v[8:9]
	scratch_load_b64 v[8:9], off, off offset:308 th:TH_LOAD_LU ; 8-byte Folded Reload
	v_add_f64_e32 v[2:3], v[62:63], v[2:3]
	v_mul_f64_e32 v[62:63], s[30:31], v[228:229]
	s_delay_alu instid0(VALU_DEP_2) | instskip(NEXT) | instid1(VALU_DEP_2)
	v_add_f64_e32 v[2:3], v[6:7], v[2:3]
	v_add_f64_e64 v[62:63], v[13:14], -v[62:63]
	scratch_load_b64 v[6:7], off, off offset:300 th:TH_LOAD_LU ; 8-byte Folded Reload
	s_wait_loadcnt 0x1
	v_add_f64_e64 v[66:67], v[8:9], -v[66:67]
	scratch_load_b64 v[8:9], off, off offset:284 th:TH_LOAD_LU ; 8-byte Folded Reload
	v_add_f64_e32 v[0:1], v[66:67], v[0:1]
	v_mul_f64_e32 v[66:67], s[20:21], v[230:231]
	s_delay_alu instid0(VALU_DEP_2)
	v_add_f64_e32 v[0:1], v[62:63], v[0:1]
	v_mul_f64_e32 v[62:63], s[34:35], v[224:225]
	s_wait_loadcnt 0x1
	v_add_f64_e32 v[4:5], v[4:5], v[6:7]
	scratch_load_b64 v[6:7], off, off offset:476 th:TH_LOAD_LU ; 8-byte Folded Reload
	s_wait_loadcnt 0x1
	v_add_f64_e32 v[80:81], v[80:81], v[8:9]
	scratch_load_b64 v[8:9], off, off offset:484 th:TH_LOAD_LU ; 8-byte Folded Reload
	v_add_f64_e32 v[2:3], v[80:81], v[2:3]
	s_delay_alu instid0(VALU_DEP_1) | instskip(SKIP_3) | instid1(VALU_DEP_2)
	v_add_f64_e32 v[2:3], v[4:5], v[2:3]
	s_wait_loadcnt 0x1
	v_add_f64_e64 v[6:7], v[16:17], -v[6:7]
	v_mul_f64_e32 v[16:17], s[28:29], v[220:221]
	v_add_f64_e32 v[4:5], v[6:7], v[0:1]
	s_delay_alu instid0(VALU_DEP_2) | instskip(SKIP_2) | instid1(VALU_DEP_3)
	v_add_f64_e32 v[16:17], v[16:17], v[11:12]
	v_mul_f64_e32 v[6:7], s[20:21], v[208:209]
	v_mul_f64_e32 v[0:1], s[38:39], v[216:217]
	v_add_f64_e32 v[2:3], v[16:17], v[2:3]
	v_mul_f64_e32 v[16:17], s[8:9], v[198:199]
	s_delay_alu instid0(VALU_DEP_4) | instskip(NEXT) | instid1(VALU_DEP_4)
	v_add_f64_e64 v[6:7], v[18:19], -v[6:7]
	v_add_f64_e64 v[0:1], v[22:23], -v[0:1]
	v_mul_f64_e32 v[22:23], s[28:29], v[202:203]
	v_mul_f64_e32 v[18:19], s[22:23], v[202:203]
	s_delay_alu instid0(VALU_DEP_4) | instskip(SKIP_1) | instid1(VALU_DEP_4)
	v_add_f64_e32 v[6:7], v[6:7], v[64:65]
	v_mul_f64_e32 v[64:65], s[20:21], v[239:240]
	v_add_f64_e32 v[12:13], v[22:23], v[24:25]
	v_mul_f64_e32 v[22:23], s[18:19], v[228:229]
	v_mul_f64_e32 v[24:25], s[10:11], v[214:215]
	v_add_f64_e32 v[18:19], v[18:19], v[36:37]
	v_mul_f64_e32 v[36:37], s[14:15], v[226:227]
	v_add_f64_e32 v[0:1], v[0:1], v[6:7]
	v_add_f64_e64 v[22:23], v[30:31], -v[22:23]
	v_add_f64_e32 v[14:15], v[24:25], v[26:27]
	v_mul_f64_e32 v[30:31], s[14:15], v[239:240]
	s_wait_loadcnt 0x0
	v_add_f64_e32 v[10:11], v[16:17], v[8:9]
	scratch_load_b64 v[8:9], off, off offset:460 th:TH_LOAD_LU ; 8-byte Folded Reload
	v_mul_f64_e32 v[16:17], s[12:13], v[72:73]
	s_delay_alu instid0(VALU_DEP_1) | instskip(NEXT) | instid1(VALU_DEP_1)
	v_add_f64_e32 v[16:17], v[16:17], v[245:246]
	v_add_f64_e32 v[16:17], v[16:17], v[241:242]
	s_delay_alu instid0(VALU_DEP_1) | instskip(SKIP_1) | instid1(VALU_DEP_2)
	v_add_f64_e32 v[6:7], v[10:11], v[16:17]
	v_mul_f64_e32 v[10:11], s[34:35], v[239:240]
	v_add_f64_e32 v[6:7], v[12:13], v[6:7]
	s_delay_alu instid0(VALU_DEP_2) | instskip(SKIP_2) | instid1(VALU_DEP_4)
	v_add_f64_e64 v[10:11], v[32:33], -v[10:11]
	v_mul_f64_e32 v[12:13], s[16:17], v[220:221]
	v_mul_f64_e32 v[32:33], s[14:15], v[230:231]
	v_add_f64_e32 v[6:7], v[14:15], v[6:7]
	v_mul_f64_e32 v[14:15], s[28:29], v[198:199]
	s_delay_alu instid0(VALU_DEP_4) | instskip(NEXT) | instid1(VALU_DEP_2)
	v_add_f64_e32 v[16:17], v[12:13], v[28:29]
	v_add_f64_e32 v[14:15], v[14:15], v[192:193]
	s_wait_loadcnt 0x0
	v_add_f64_e64 v[20:21], v[20:21], -v[8:9]
	scratch_load_b64 v[8:9], off, off offset:444 th:TH_LOAD_LU ; 8-byte Folded Reload
	v_add_f64_e32 v[0:1], v[20:21], v[0:1]
	v_mul_f64_e32 v[20:21], s[36:37], v[228:229]
	s_delay_alu instid0(VALU_DEP_2) | instskip(NEXT) | instid1(VALU_DEP_2)
	v_add_f64_e32 v[0:1], v[22:23], v[0:1]
	v_add_f64_e64 v[20:21], v[86:87], -v[20:21]
	v_mul_f64_e32 v[22:23], s[12:13], v[214:215]
	s_delay_alu instid0(VALU_DEP_3)
	v_add_f64_e32 v[12:13], v[10:11], v[0:1]
	scratch_load_b64 v[0:1], off, off offset:452 th:TH_LOAD_LU ; 8-byte Folded Reload
	v_add_f64_e32 v[10:11], v[16:17], v[6:7]
	v_mul_f64_e32 v[6:7], s[26:27], v[208:209]
	v_mul_f64_e32 v[16:17], s[16:17], v[72:73]
	v_add_f64_e32 v[22:23], v[22:23], v[74:75]
	s_delay_alu instid0(VALU_DEP_3) | instskip(SKIP_1) | instid1(VALU_DEP_2)
	v_add_f64_e64 v[6:7], v[34:35], -v[6:7]
	v_mul_f64_e32 v[34:35], s[24:25], v[206:207]
	v_add_f64_e32 v[6:7], v[6:7], v[243:244]
	s_wait_loadcnt 0x1
	v_add_f64_e32 v[8:9], v[16:17], v[8:9]
	v_mul_f64_e32 v[16:17], s[24:25], v[226:227]
	s_delay_alu instid0(VALU_DEP_2) | instskip(NEXT) | instid1(VALU_DEP_2)
	v_add_f64_e32 v[8:9], v[8:9], v[194:195]
	v_add_f64_e64 v[16:17], v[38:39], -v[16:17]
	v_mul_f64_e32 v[38:39], s[14:15], v[212:213]
	s_wait_loadcnt 0x0
	v_add_f64_e64 v[0:1], v[84:85], -v[0:1]
	s_delay_alu instid0(VALU_DEP_1) | instskip(SKIP_3) | instid1(VALU_DEP_4)
	v_add_f64_e32 v[0:1], v[0:1], v[6:7]
	v_add_f64_e32 v[6:7], v[14:15], v[8:9]
	v_mul_f64_e32 v[8:9], s[40:41], v[239:240]
	v_mul_f64_e32 v[14:15], s[10:11], v[220:221]
	v_add_f64_e32 v[0:1], v[16:17], v[0:1]
	scratch_load_b64 v[16:17], off, off offset:468 th:TH_LOAD_LU ; 8-byte Folded Reload
	v_add_f64_e64 v[8:9], v[232:233], -v[8:9]
	v_add_f64_e32 v[6:7], v[18:19], v[6:7]
	v_add_f64_e32 v[14:15], v[14:15], v[52:53]
	v_mul_f64_e32 v[18:19], s[30:31], v[204:205]
	v_add_f64_e32 v[0:1], v[20:21], v[0:1]
	v_mul_f64_e32 v[20:21], s[18:19], v[216:217]
	v_add_f64_e32 v[6:7], v[22:23], v[6:7]
	s_delay_alu instid0(VALU_DEP_3) | instskip(SKIP_1) | instid1(VALU_DEP_4)
	v_add_f64_e32 v[8:9], v[8:9], v[0:1]
	v_mul_f64_e32 v[0:1], s[30:31], v[208:209]
	v_fma_f64 v[22:23], v[200:201], s[10:11], -v[20:21]
	v_fma_f64 v[20:21], v[200:201], s[10:11], v[20:21]
	v_add_f64_e32 v[6:7], v[14:15], v[6:7]
	s_delay_alu instid0(VALU_DEP_4) | instskip(SKIP_2) | instid1(VALU_DEP_2)
	v_fma_f64 v[14:15], v[196:197], s[22:23], -v[0:1]
	v_fma_f64 v[0:1], v[196:197], s[22:23], v[0:1]
	s_wait_loadcnt 0x0
	v_add_f64_e32 v[14:15], v[14:15], v[16:17]
	v_fma_f64 v[16:17], v[72:73], s[22:23], v[18:19]
	v_fma_f64 v[18:19], v[72:73], s[22:23], -v[18:19]
	s_delay_alu instid0(VALU_DEP_3) | instskip(SKIP_1) | instid1(VALU_DEP_4)
	v_add_f64_e32 v[14:15], v[22:23], v[14:15]
	v_mul_f64_e32 v[22:23], s[18:19], v[206:207]
	v_add_f64_e32 v[16:17], v[16:17], v[247:248]
	scratch_load_b32 v247, off, off offset:16 ; 4-byte Folded Reload
	v_mov_b32_e32 v248, v255
	v_fma_f64 v[24:25], v[198:199], s[10:11], v[22:23]
	s_delay_alu instid0(VALU_DEP_1) | instskip(SKIP_1) | instid1(VALU_DEP_1)
	v_add_f64_e32 v[16:17], v[24:25], v[16:17]
	v_mul_f64_e32 v[24:25], s[36:37], v[226:227]
	v_fma_f64 v[26:27], v[210:211], s[12:13], -v[24:25]
	s_delay_alu instid0(VALU_DEP_1) | instskip(SKIP_1) | instid1(VALU_DEP_1)
	v_add_f64_e32 v[14:15], v[26:27], v[14:15]
	v_mul_f64_e32 v[26:27], s[36:37], v[212:213]
	v_fma_f64 v[28:29], v[202:203], s[12:13], v[26:27]
	s_delay_alu instid0(VALU_DEP_1) | instskip(SKIP_1) | instid1(VALU_DEP_1)
	v_add_f64_e32 v[16:17], v[28:29], v[16:17]
	v_fma_f64 v[28:29], v[218:219], s[28:29], -v[60:61]
	v_add_f64_e32 v[14:15], v[28:29], v[14:15]
	v_fma_f64 v[28:29], v[214:215], s[28:29], v[162:163]
	s_delay_alu instid0(VALU_DEP_1) | instskip(SKIP_1) | instid1(VALU_DEP_1)
	v_add_f64_e32 v[28:29], v[28:29], v[16:17]
	v_fma_f64 v[16:17], v[222:223], s[8:9], -v[30:31]
	v_add_f64_e32 v[16:17], v[16:17], v[14:15]
	v_fma_f64 v[14:15], v[220:221], s[8:9], v[32:33]
	s_delay_alu instid0(VALU_DEP_1)
	v_add_f64_e32 v[14:15], v[14:15], v[28:29]
	scratch_load_b64 v[28:29], off, off offset:436 th:TH_LOAD_LU ; 8-byte Folded Reload
	s_wait_loadcnt 0x0
	v_add_f64_e32 v[0:1], v[0:1], v[28:29]
	scratch_load_b64 v[28:29], off, off offset:428 th:TH_LOAD_LU ; 8-byte Folded Reload
	v_add_f64_e32 v[0:1], v[20:21], v[0:1]
	v_fma_f64 v[20:21], v[198:199], s[10:11], -v[22:23]
	v_fma_f64 v[22:23], v[220:221], s[8:9], -v[32:33]
	v_mul_f64_e32 v[32:33], s[24:25], v[216:217]
	s_wait_loadcnt 0x0
	v_add_f64_e32 v[18:19], v[18:19], v[28:29]
	s_delay_alu instid0(VALU_DEP_1) | instskip(SKIP_1) | instid1(VALU_DEP_1)
	v_add_f64_e32 v[18:19], v[20:21], v[18:19]
	v_fma_f64 v[20:21], v[210:211], s[12:13], v[24:25]
	v_add_f64_e32 v[0:1], v[20:21], v[0:1]
	v_fma_f64 v[20:21], v[202:203], s[12:13], -v[26:27]
	v_fma_f64 v[26:27], v[200:201], s[22:23], -v[32:33]
	v_fma_f64 v[32:33], v[200:201], s[22:23], v[32:33]
	s_delay_alu instid0(VALU_DEP_3) | instskip(SKIP_2) | instid1(VALU_DEP_2)
	v_add_f64_e32 v[18:19], v[20:21], v[18:19]
	v_fma_f64 v[20:21], v[218:219], s[28:29], v[60:61]
	v_mul_f64_e32 v[60:61], s[34:35], v[228:229]
	v_add_f64_e32 v[0:1], v[20:21], v[0:1]
	v_fma_f64 v[20:21], v[214:215], s[28:29], -v[162:163]
	s_delay_alu instid0(VALU_DEP_1) | instskip(SKIP_2) | instid1(VALU_DEP_3)
	v_add_f64_e32 v[18:19], v[20:21], v[18:19]
	v_fma_f64 v[20:21], v[222:223], s[8:9], v[30:31]
	v_mul_f64_e32 v[30:31], s[18:19], v[204:205]
	v_add_f64_e32 v[18:19], v[22:23], v[18:19]
	s_delay_alu instid0(VALU_DEP_3) | instskip(SKIP_1) | instid1(VALU_DEP_4)
	v_add_f64_e32 v[20:21], v[20:21], v[0:1]
	v_mul_f64_e32 v[0:1], s[18:19], v[208:209]
	v_fma_f64 v[24:25], v[72:73], s[10:11], v[30:31]
	v_fma_f64 v[30:31], v[72:73], s[10:11], -v[30:31]
	s_delay_alu instid0(VALU_DEP_3) | instskip(NEXT) | instid1(VALU_DEP_3)
	v_fma_f64 v[22:23], v[196:197], s[10:11], -v[0:1]
	v_add_f64_e32 v[24:25], v[24:25], v[188:189]
	v_fma_f64 v[0:1], v[196:197], s[10:11], v[0:1]
	s_delay_alu instid0(VALU_DEP_3) | instskip(NEXT) | instid1(VALU_DEP_2)
	v_add_f64_e32 v[22:23], v[22:23], v[76:77]
	v_add_f64_e32 v[0:1], v[0:1], v[251:252]
	s_delay_alu instid0(VALU_DEP_2) | instskip(SKIP_1) | instid1(VALU_DEP_3)
	v_add_f64_e32 v[22:23], v[26:27], v[22:23]
	v_fma_f64 v[26:27], v[198:199], s[22:23], v[34:35]
	v_add_f64_e32 v[0:1], v[32:33], v[0:1]
	v_fma_f64 v[32:33], v[218:219], s[16:17], v[60:61]
	v_fma_f64 v[34:35], v[198:199], s[22:23], -v[34:35]
	s_delay_alu instid0(VALU_DEP_4) | instskip(SKIP_2) | instid1(VALU_DEP_2)
	v_add_f64_e32 v[24:25], v[26:27], v[24:25]
	v_fma_f64 v[26:27], v[210:211], s[8:9], -v[36:37]
	v_fma_f64 v[36:37], v[210:211], s[8:9], v[36:37]
	v_add_f64_e32 v[22:23], v[26:27], v[22:23]
	v_fma_f64 v[26:27], v[202:203], s[8:9], v[38:39]
	s_delay_alu instid0(VALU_DEP_3) | instskip(SKIP_2) | instid1(VALU_DEP_4)
	v_add_f64_e32 v[0:1], v[36:37], v[0:1]
	v_fma_f64 v[36:37], v[222:223], s[12:13], v[64:65]
	v_fma_f64 v[38:39], v[202:203], s[8:9], -v[38:39]
	v_add_f64_e32 v[24:25], v[26:27], v[24:25]
	v_fma_f64 v[26:27], v[218:219], s[16:17], -v[60:61]
	v_add_f64_e32 v[0:1], v[32:33], v[0:1]
	s_delay_alu instid0(VALU_DEP_2) | instskip(SKIP_1) | instid1(VALU_DEP_3)
	v_add_f64_e32 v[22:23], v[26:27], v[22:23]
	v_fma_f64 v[26:27], v[214:215], s[16:17], v[62:63]
	v_add_f64_e32 v[32:33], v[36:37], v[0:1]
	s_delay_alu instid0(VALU_DEP_2) | instskip(SKIP_1) | instid1(VALU_DEP_1)
	v_add_f64_e32 v[26:27], v[26:27], v[24:25]
	v_fma_f64 v[24:25], v[222:223], s[12:13], -v[64:65]
	v_add_f64_e32 v[24:25], v[24:25], v[22:23]
	v_fma_f64 v[22:23], v[220:221], s[12:13], v[66:67]
	s_delay_alu instid0(VALU_DEP_1)
	v_add_f64_e32 v[22:23], v[22:23], v[26:27]
	s_clause 0x1
	scratch_load_b64 v[26:27], off, off th:TH_LOAD_LU
	scratch_load_b64 v[28:29], off, off offset:404 th:TH_LOAD_LU
	s_wait_loadcnt 0x0
	v_add_f64_e32 v[26:27], v[28:29], v[26:27]
	s_clause 0x2
	scratch_load_b64 v[28:29], off, off offset:204 th:TH_LOAD_LU
	scratch_load_b64 v[52:53], off, off offset:412 th:TH_LOAD_LU
	scratch_load_b64 v[76:77], off, off offset:212 th:TH_LOAD_LU
	s_wait_loadcnt 0x1
	v_add_f64_e32 v[28:29], v[52:53], v[28:29]
	scratch_load_b64 v[52:53], off, off offset:388 th:TH_LOAD_LU ; 8-byte Folded Reload
	s_wait_loadcnt 0x1
	v_add_f64_e32 v[26:27], v[26:27], v[76:77]
	scratch_load_b64 v[76:77], off, off offset:228 th:TH_LOAD_LU ; 8-byte Folded Reload
	;; [unrolled: 3-line block ×5, first 2 shown]
	v_add_f64_e32 v[28:29], v[28:29], v[76:77]
	scratch_load_b64 v[76:77], off, off offset:236 th:TH_LOAD_LU ; 8-byte Folded Reload
	v_add_f64_e32 v[26:27], v[26:27], v[82:83]
	s_wait_loadcnt 0x1
	s_delay_alu instid0(VALU_DEP_1)
	v_add_f64_e32 v[26:27], v[26:27], v[52:53]
	scratch_load_b64 v[52:53], off, off offset:356 th:TH_LOAD_LU ; 8-byte Folded Reload
	s_wait_loadcnt 0x1
	v_add_f64_e32 v[28:29], v[28:29], v[76:77]
	scratch_load_b64 v[76:77], off, off offset:252 th:TH_LOAD_LU ; 8-byte Folded Reload
	s_wait_loadcnt 0x0
	v_add_f64_e32 v[28:29], v[28:29], v[76:77]
	s_delay_alu instid0(VALU_DEP_1) | instskip(NEXT) | instid1(VALU_DEP_1)
	v_add_f64_e32 v[28:29], v[28:29], v[78:79]
	v_add_f64_e32 v[28:29], v[28:29], v[54:55]
	s_delay_alu instid0(VALU_DEP_1)
	v_add_f64_e32 v[28:29], v[28:29], v[52:53]
	scratch_load_b64 v[52:53], off, off offset:372 th:TH_LOAD_LU ; 8-byte Folded Reload
	s_wait_loadcnt 0x0
	v_add_f64_e32 v[26:27], v[26:27], v[52:53]
	scratch_load_b64 v[52:53], off, off offset:348 th:TH_LOAD_LU ; 8-byte Folded Reload
	s_wait_loadcnt 0x0
	;; [unrolled: 3-line block ×8, first 2 shown]
	v_add_f64_e32 v[26:27], v[52:53], v[26:27]
	s_clause 0x4
	scratch_load_b32 v252, off, off offset:324
	scratch_load_b32 v251, off, off offset:316
	scratch_load_b64 v[52:53], off, off offset:420 th:TH_LOAD_LU
	scratch_load_b32 v0, off, off offset:192 th:TH_LOAD_LU
	scratch_load_b32 v1, off, off offset:188 th:TH_LOAD_LU
	s_wait_loadcnt 0x2
	v_add_f64_e32 v[30:31], v[30:31], v[52:53]
	s_wait_loadcnt 0x1
	v_mul_u32_u24_e32 v0, 26, v0
	s_wait_loadcnt 0x0
	s_delay_alu instid0(VALU_DEP_1) | instskip(NEXT) | instid1(VALU_DEP_1)
	v_or_b32_e32 v0, v0, v1
	v_lshlrev_b32_e32 v0, 4, v0
	s_delay_alu instid0(VALU_DEP_4) | instskip(SKIP_1) | instid1(VALU_DEP_2)
	v_add_f64_e32 v[30:31], v[34:35], v[30:31]
	v_fma_f64 v[34:35], v[214:215], s[16:17], -v[62:63]
	v_add_f64_e32 v[30:31], v[38:39], v[30:31]
	v_fma_f64 v[38:39], v[220:221], s[12:13], -v[66:67]
	s_delay_alu instid0(VALU_DEP_2) | instskip(NEXT) | instid1(VALU_DEP_1)
	v_add_f64_e32 v[30:31], v[34:35], v[30:31]
	v_add_f64_e32 v[30:31], v[38:39], v[30:31]
	ds_store_b128 v0, v[2:5] offset:64
	ds_store_b128 v0, v[10:13] offset:96
	;; [unrolled: 1-line block ×11, first 2 shown]
	ds_store_b128 v0, v[26:29]
	ds_store_b128 v0, v[30:33] offset:384
.LBB0_17:
	s_wait_alu 0xfffe
	s_or_b32 exec_lo, exec_lo, s1
	global_wb scope:SCOPE_SE
	s_wait_storecnt_dscnt 0x0
	s_barrier_signal -1
	s_barrier_wait -1
	global_inv scope:SCOPE_SE
	ds_load_b128 v[56:59], v236
	ds_load_b128 v[52:55], v236 offset:1872
	ds_load_b128 v[76:79], v236 offset:12480
	;; [unrolled: 1-line block ×8, first 2 shown]
	s_and_saveexec_b32 s0, vcc_lo
	s_cbranch_execz .LBB0_19
; %bb.18:
	ds_load_b128 v[40:43], v236 offset:5616
	ds_load_b128 v[48:51], v236 offset:11856
	;; [unrolled: 1-line block ×3, first 2 shown]
.LBB0_19:
	s_wait_alu 0xfffe
	s_or_b32 exec_lo, exec_lo, s0
	s_wait_dscnt 0x4
	v_mul_f64_e32 v[0:1], v[110:111], v[86:87]
	v_mul_f64_e32 v[2:3], v[94:95], v[78:79]
	v_mul_f64_e32 v[4:5], v[110:111], v[84:85]
	v_mul_f64_e32 v[6:7], v[94:95], v[76:77]
	v_mul_f64_e32 v[10:11], v[90:91], v[66:67]
	s_wait_dscnt 0x2
	v_mul_f64_e32 v[12:13], v[98:99], v[80:81]
	v_mul_f64_e32 v[14:15], v[90:91], v[64:65]
	s_wait_dscnt 0x1
	v_mul_f64_e32 v[16:17], v[106:107], v[70:71]
	s_wait_dscnt 0x0
	v_mul_f64_e32 v[18:19], v[102:103], v[74:75]
	v_mul_f64_e32 v[20:21], v[106:107], v[68:69]
	;; [unrolled: 1-line block ×8, first 2 shown]
	s_mov_b32 s0, 0xe8584caa
	s_mov_b32 s1, 0xbfebb67a
	;; [unrolled: 1-line block ×3, first 2 shown]
	s_wait_alu 0xfffe
	s_mov_b32 s8, s0
	global_wb scope:SCOPE_SE
	s_barrier_signal -1
	s_barrier_wait -1
	global_inv scope:SCOPE_SE
	v_fma_f64 v[32:33], v[108:109], v[84:85], v[0:1]
	v_fma_f64 v[34:35], v[92:93], v[76:77], v[2:3]
	v_fma_f64 v[36:37], v[108:109], v[86:87], -v[4:5]
	v_fma_f64 v[38:39], v[92:93], v[78:79], -v[6:7]
	v_fma_f64 v[64:65], v[88:89], v[64:65], v[10:11]
	v_fma_f64 v[10:11], v[96:97], v[82:83], -v[12:13]
	v_fma_f64 v[14:15], v[88:89], v[66:67], -v[14:15]
	v_fma_f64 v[12:13], v[104:105], v[68:69], v[16:17]
	v_fma_f64 v[16:17], v[100:101], v[72:73], v[18:19]
	v_fma_f64 v[18:19], v[104:105], v[70:71], -v[20:21]
	v_fma_f64 v[20:21], v[100:101], v[74:75], -v[22:23]
	v_fma_f64 v[2:3], v[116:117], v[48:49], v[24:25]
	;; [unrolled: 4-line block ×3, first 2 shown]
	v_add_f64_e32 v[50:51], v[56:57], v[32:33]
	v_add_f64_e32 v[22:23], v[32:33], v[34:35]
	v_add_f64_e64 v[32:33], v[32:33], -v[34:35]
	v_add_f64_e32 v[24:25], v[36:37], v[38:39]
	v_add_f64_e64 v[66:67], v[36:37], -v[38:39]
	v_add_f64_e32 v[36:37], v[58:59], v[36:37]
	v_add_f64_e32 v[28:29], v[10:11], v[14:15]
	;; [unrolled: 1-line block ×6, first 2 shown]
	v_add_f64_e64 v[80:81], v[12:13], -v[16:17]
	v_add_f64_e32 v[46:47], v[2:3], v[0:1]
	v_add_f64_e64 v[82:83], v[2:3], -v[0:1]
	v_add_f64_e32 v[48:49], v[6:7], v[4:5]
	v_add_f64_e32 v[26:27], v[8:9], v[64:65]
	v_add_f64_e64 v[76:77], v[8:9], -v[64:65]
	v_add_f64_e32 v[68:69], v[52:53], v[8:9]
	;; [unrolled: 3-line block ×3, first 2 shown]
	v_fma_f64 v[22:23], v[22:23], -0.5, v[56:57]
	v_fma_f64 v[56:57], v[24:25], -0.5, v[58:59]
	v_add_f64_e64 v[58:59], v[10:11], -v[14:15]
	v_add_f64_e32 v[10:11], v[36:37], v[38:39]
	v_fma_f64 v[54:55], v[28:29], -0.5, v[54:55]
	v_add_f64_e32 v[14:15], v[70:71], v[14:15]
	v_fma_f64 v[60:61], v[30:31], -0.5, v[60:61]
	;; [unrolled: 2-line block ×3, first 2 shown]
	v_add_f64_e64 v[62:63], v[6:7], -v[4:5]
	v_fma_f64 v[46:47], v[46:47], -0.5, v[40:41]
	v_fma_f64 v[84:85], v[48:49], -0.5, v[42:43]
	;; [unrolled: 1-line block ×3, first 2 shown]
	v_add_f64_e32 v[12:13], v[68:69], v[64:65]
	v_add_f64_e32 v[16:17], v[72:73], v[16:17]
	v_fma_f64 v[20:21], v[66:67], s[0:1], v[22:23]
	s_wait_alu 0xfffe
	v_fma_f64 v[24:25], v[66:67], s[8:9], v[22:23]
	v_fma_f64 v[22:23], v[32:33], s[8:9], v[56:57]
	;; [unrolled: 1-line block ×15, first 2 shown]
	ds_store_b128 v251, v[8:11]
	ds_store_b128 v251, v[20:23] offset:416
	ds_store_b128 v251, v[24:27] offset:832
	ds_store_b128 v250, v[12:15]
	ds_store_b128 v250, v[28:31] offset:416
	ds_store_b128 v250, v[32:35] offset:832
	;; [unrolled: 3-line block ×3, first 2 shown]
	s_and_saveexec_b32 s0, vcc_lo
	s_cbranch_execz .LBB0_21
; %bb.20:
	v_add_f64_e32 v[6:7], v[42:43], v[6:7]
	v_add_f64_e32 v[8:9], v[40:41], v[2:3]
	s_delay_alu instid0(VALU_DEP_2) | instskip(NEXT) | instid1(VALU_DEP_2)
	v_add_f64_e32 v[2:3], v[6:7], v[4:5]
	v_add_f64_e32 v[0:1], v[8:9], v[0:1]
	v_and_b32_e32 v4, 0xffff, v248
	s_delay_alu instid0(VALU_DEP_1)
	v_lshlrev_b32_e32 v4, 4, v4
	ds_store_b128 v4, v[0:3]
	ds_store_b128 v4, v[44:47] offset:416
	ds_store_b128 v4, v[48:51] offset:832
.LBB0_21:
	s_wait_alu 0xfffe
	s_or_b32 exec_lo, exec_lo, s0
	global_wb scope:SCOPE_SE
	s_wait_dscnt 0x0
	s_barrier_signal -1
	s_barrier_wait -1
	global_inv scope:SCOPE_SE
	ds_load_b128 v[0:3], v236 offset:3744
	ds_load_b128 v[4:7], v236 offset:7488
	;; [unrolled: 1-line block ×8, first 2 shown]
	s_mov_b32 s0, 0x134454ff
	s_mov_b32 s1, 0xbfee6f0e
	;; [unrolled: 1-line block ×3, first 2 shown]
	s_wait_alu 0xfffe
	s_mov_b32 s8, s0
	s_wait_dscnt 0x7
	v_mul_f64_e32 v[38:39], v[134:135], v[0:1]
	s_wait_dscnt 0x6
	v_mul_f64_e32 v[34:35], v[126:127], v[6:7]
	;; [unrolled: 2-line block ×3, first 2 shown]
	v_mul_f64_e32 v[42:43], v[126:127], v[4:5]
	v_mul_f64_e32 v[52:53], v[122:123], v[8:9]
	;; [unrolled: 1-line block ×3, first 2 shown]
	s_wait_dscnt 0x4
	v_mul_f64_e32 v[40:41], v[130:131], v[14:15]
	v_mul_f64_e32 v[54:55], v[130:131], v[12:13]
	s_wait_dscnt 0x2
	v_mul_f64_e32 v[58:59], v[142:143], v[22:23]
	s_wait_dscnt 0x1
	v_mul_f64_e32 v[60:61], v[150:151], v[26:27]
	v_mul_f64_e32 v[62:63], v[142:143], v[20:21]
	;; [unrolled: 1-line block ×4, first 2 shown]
	s_wait_dscnt 0x0
	v_mul_f64_e32 v[64:65], v[146:147], v[30:31]
	v_mul_f64_e32 v[68:69], v[138:139], v[16:17]
	;; [unrolled: 1-line block ×3, first 2 shown]
	v_fma_f64 v[34:35], v[124:125], v[4:5], v[34:35]
	v_fma_f64 v[8:9], v[120:121], v[8:9], v[36:37]
	v_fma_f64 v[36:37], v[132:133], v[2:3], -v[38:39]
	v_fma_f64 v[38:39], v[124:125], v[6:7], -v[42:43]
	;; [unrolled: 1-line block ×3, first 2 shown]
	v_fma_f64 v[32:33], v[132:133], v[0:1], v[32:33]
	v_fma_f64 v[12:13], v[128:129], v[12:13], v[40:41]
	v_fma_f64 v[14:15], v[128:129], v[14:15], -v[54:55]
	v_fma_f64 v[20:21], v[140:141], v[20:21], v[58:59]
	v_fma_f64 v[24:25], v[148:149], v[24:25], v[60:61]
	v_fma_f64 v[22:23], v[140:141], v[22:23], -v[62:63]
	v_fma_f64 v[26:27], v[148:149], v[26:27], -v[66:67]
	v_fma_f64 v[16:17], v[136:137], v[16:17], v[56:57]
	v_fma_f64 v[28:29], v[144:145], v[28:29], v[64:65]
	v_fma_f64 v[18:19], v[136:137], v[18:19], -v[68:69]
	v_fma_f64 v[30:31], v[144:145], v[30:31], -v[70:71]
	ds_load_b128 v[0:3], v236
	ds_load_b128 v[4:7], v236 offset:1872
	global_wb scope:SCOPE_SE
	s_wait_dscnt 0x0
	s_barrier_signal -1
	s_barrier_wait -1
	global_inv scope:SCOPE_SE
	v_add_f64_e32 v[40:41], v[34:35], v[8:9]
	v_add_f64_e32 v[70:71], v[2:3], v[36:37]
	v_add_f64_e64 v[86:87], v[36:37], -v[38:39]
	v_add_f64_e32 v[52:53], v[38:39], v[10:11]
	v_add_f64_e32 v[64:65], v[0:1], v[32:33]
	;; [unrolled: 1-line block ×4, first 2 shown]
	v_add_f64_e64 v[66:67], v[36:37], -v[14:15]
	v_add_f64_e32 v[56:57], v[20:21], v[24:25]
	v_add_f64_e64 v[76:77], v[32:33], -v[12:13]
	v_add_f64_e32 v[60:61], v[22:23], v[26:27]
	v_add_f64_e32 v[72:73], v[4:5], v[16:17]
	;; [unrolled: 1-line block ×3, first 2 shown]
	v_add_f64_e64 v[68:69], v[38:39], -v[10:11]
	v_add_f64_e32 v[62:63], v[18:19], v[30:31]
	v_add_f64_e32 v[74:75], v[6:7], v[18:19]
	v_add_f64_e64 v[78:79], v[18:19], -v[30:31]
	v_add_f64_e64 v[80:81], v[16:17], -v[28:29]
	;; [unrolled: 1-line block ×15, first 2 shown]
	v_fma_f64 v[40:41], v[40:41], -0.5, v[0:1]
	v_add_f64_e32 v[38:39], v[70:71], v[38:39]
	v_fma_f64 v[52:53], v[52:53], -0.5, v[2:3]
	v_fma_f64 v[0:1], v[42:43], -0.5, v[0:1]
	v_add_f64_e64 v[42:43], v[34:35], -v[8:9]
	v_fma_f64 v[2:3], v[54:55], -0.5, v[2:3]
	v_fma_f64 v[56:57], v[56:57], -0.5, v[4:5]
	v_add_f64_e64 v[54:55], v[22:23], -v[26:27]
	;; [unrolled: 3-line block ×3, first 2 shown]
	v_fma_f64 v[6:7], v[62:63], -0.5, v[6:7]
	v_add_f64_e64 v[62:63], v[32:33], -v[34:35]
	v_add_f64_e64 v[32:33], v[34:35], -v[32:33]
	v_add_f64_e32 v[34:35], v[64:65], v[34:35]
	v_add_f64_e32 v[20:21], v[72:73], v[20:21]
	v_add_f64_e32 v[22:23], v[74:75], v[22:23]
	v_add_f64_e32 v[36:37], v[36:37], v[90:91]
	v_add_f64_e32 v[90:91], v[18:19], v[102:103]
	v_fma_f64 v[64:65], v[66:67], s[0:1], v[40:41]
	s_wait_alu 0xfffe
	v_fma_f64 v[40:41], v[66:67], s[8:9], v[40:41]
	v_add_f64_e32 v[10:11], v[38:39], v[10:11]
	v_fma_f64 v[72:73], v[76:77], s[8:9], v[52:53]
	v_fma_f64 v[52:53], v[76:77], s[0:1], v[52:53]
	;; [unrolled: 1-line block ×14, first 2 shown]
	s_mov_b32 s0, 0x4755a5e
	s_mov_b32 s1, 0xbfe2cf23
	;; [unrolled: 1-line block ×3, first 2 shown]
	s_wait_alu 0xfffe
	s_mov_b32 s8, s0
	v_add_f64_e32 v[8:9], v[34:35], v[8:9]
	v_add_f64_e32 v[62:63], v[62:63], v[82:83]
	;; [unrolled: 1-line block ×9, first 2 shown]
	v_fma_f64 v[20:21], v[68:69], s[0:1], v[64:65]
	s_wait_alu 0xfffe
	v_fma_f64 v[22:23], v[68:69], s[8:9], v[40:41]
	v_fma_f64 v[34:35], v[42:43], s[8:9], v[72:73]
	;; [unrolled: 1-line block ×15, first 2 shown]
	s_mov_b32 s0, 0x372fe950
	s_mov_b32 s1, 0x3fd3c6ef
	v_add_f64_e32 v[2:3], v[10:11], v[14:15]
	v_add_f64_e32 v[0:1], v[8:9], v[12:13]
	v_add_f64_e32 v[4:5], v[16:17], v[28:29]
	v_add_f64_e32 v[6:7], v[18:19], v[30:31]
	s_wait_alu 0xfffe
	v_fma_f64 v[8:9], v[62:63], s[0:1], v[20:21]
	v_fma_f64 v[12:13], v[62:63], s[0:1], v[22:23]
	;; [unrolled: 1-line block ×16, first 2 shown]
	ds_store_b128 v253, v[0:3]
	ds_store_b128 v253, v[8:11] offset:1248
	ds_store_b128 v253, v[16:19] offset:2496
	ds_store_b128 v253, v[20:23] offset:3744
	ds_store_b128 v253, v[12:15] offset:4992
	ds_store_b128 v252, v[4:7]
	ds_store_b128 v252, v[24:27] offset:1248
	ds_store_b128 v252, v[28:31] offset:2496
	;; [unrolled: 1-line block ×4, first 2 shown]
	global_wb scope:SCOPE_SE
	s_wait_dscnt 0x0
	s_barrier_signal -1
	s_barrier_wait -1
	global_inv scope:SCOPE_SE
	ds_load_b128 v[60:63], v236
	ds_load_b128 v[52:55], v236 offset:1872
	ds_load_b128 v[76:79], v236 offset:12480
	;; [unrolled: 1-line block ×8, first 2 shown]
	s_and_saveexec_b32 s0, vcc_lo
	s_cbranch_execz .LBB0_23
; %bb.22:
	ds_load_b128 v[40:43], v236 offset:5616
	ds_load_b128 v[44:47], v236 offset:11856
	;; [unrolled: 1-line block ×3, first 2 shown]
.LBB0_23:
	s_wait_alu 0xfffe
	s_or_b32 exec_lo, exec_lo, s0
	s_wait_dscnt 0x4
	v_mul_f64_e32 v[0:1], v[174:175], v[86:87]
	v_mul_f64_e32 v[2:3], v[178:179], v[78:79]
	;; [unrolled: 1-line block ×4, first 2 shown]
	s_wait_dscnt 0x2
	v_mul_f64_e32 v[8:9], v[182:183], v[82:83]
	v_mul_f64_e32 v[10:11], v[186:187], v[66:67]
	;; [unrolled: 1-line block ×4, first 2 shown]
	s_wait_dscnt 0x1
	v_mul_f64_e32 v[16:17], v[166:167], v[70:71]
	s_wait_dscnt 0x0
	v_mul_f64_e32 v[18:19], v[170:171], v[74:75]
	v_mul_f64_e32 v[20:21], v[166:167], v[68:69]
	;; [unrolled: 1-line block ×3, first 2 shown]
	s_mov_b32 s0, 0xe8584caa
	s_mov_b32 s1, 0xbfebb67a
	;; [unrolled: 1-line block ×3, first 2 shown]
	s_wait_alu 0xfffe
	s_mov_b32 s8, s0
	v_fma_f64 v[0:1], v[172:173], v[84:85], v[0:1]
	v_fma_f64 v[2:3], v[176:177], v[76:77], v[2:3]
	v_fma_f64 v[4:5], v[172:173], v[86:87], -v[4:5]
	v_fma_f64 v[6:7], v[176:177], v[78:79], -v[6:7]
	v_fma_f64 v[8:9], v[180:181], v[80:81], v[8:9]
	v_fma_f64 v[10:11], v[184:185], v[64:65], v[10:11]
	v_fma_f64 v[12:13], v[180:181], v[82:83], -v[12:13]
	v_fma_f64 v[14:15], v[184:185], v[66:67], -v[14:15]
	;; [unrolled: 4-line block ×3, first 2 shown]
	v_add_f64_e32 v[36:37], v[60:61], v[0:1]
	v_add_f64_e32 v[24:25], v[0:1], v[2:3]
	;; [unrolled: 1-line block ×3, first 2 shown]
	v_add_f64_e64 v[38:39], v[4:5], -v[6:7]
	v_add_f64_e32 v[28:29], v[8:9], v[10:11]
	v_add_f64_e32 v[4:5], v[62:63], v[4:5]
	;; [unrolled: 1-line block ×9, first 2 shown]
	v_fma_f64 v[24:25], v[24:25], -0.5, v[60:61]
	v_add_f64_e64 v[60:61], v[0:1], -v[2:3]
	v_fma_f64 v[26:27], v[26:27], -0.5, v[62:63]
	v_add_f64_e64 v[62:63], v[12:13], -v[14:15]
	;; [unrolled: 2-line block ×5, first 2 shown]
	v_fma_f64 v[34:35], v[34:35], -0.5, v[58:59]
	v_add_f64_e32 v[0:1], v[36:37], v[2:3]
	v_add_f64_e32 v[2:3], v[4:5], v[6:7]
	;; [unrolled: 1-line block ×6, first 2 shown]
	s_wait_alu 0xfffe
	v_fma_f64 v[16:17], v[38:39], s[8:9], v[24:25]
	v_fma_f64 v[12:13], v[38:39], s[0:1], v[24:25]
	;; [unrolled: 1-line block ×12, first 2 shown]
	ds_store_b128 v236, v[0:3]
	ds_store_b128 v236, v[4:7] offset:1872
	ds_store_b128 v236, v[16:19] offset:12480
	;; [unrolled: 1-line block ×8, first 2 shown]
	s_and_saveexec_b32 s10, vcc_lo
	s_cbranch_execz .LBB0_25
; %bb.24:
	v_mul_f64_e32 v[0:1], v[154:155], v[44:45]
	v_mul_f64_e32 v[2:3], v[158:159], v[48:49]
	;; [unrolled: 1-line block ×4, first 2 shown]
	s_delay_alu instid0(VALU_DEP_4) | instskip(NEXT) | instid1(VALU_DEP_4)
	v_fma_f64 v[0:1], v[152:153], v[46:47], -v[0:1]
	v_fma_f64 v[2:3], v[156:157], v[50:51], -v[2:3]
	s_delay_alu instid0(VALU_DEP_4) | instskip(NEXT) | instid1(VALU_DEP_4)
	v_fma_f64 v[4:5], v[152:153], v[44:45], v[4:5]
	v_fma_f64 v[6:7], v[156:157], v[48:49], v[6:7]
	s_delay_alu instid0(VALU_DEP_4) | instskip(NEXT) | instid1(VALU_DEP_4)
	v_add_f64_e32 v[14:15], v[42:43], v[0:1]
	v_add_f64_e32 v[8:9], v[0:1], v[2:3]
	v_add_f64_e64 v[16:17], v[0:1], -v[2:3]
	s_delay_alu instid0(VALU_DEP_4)
	v_add_f64_e32 v[10:11], v[4:5], v[6:7]
	v_add_f64_e64 v[12:13], v[4:5], -v[6:7]
	v_add_f64_e32 v[4:5], v[40:41], v[4:5]
	v_add_f64_e32 v[2:3], v[14:15], v[2:3]
	v_fma_f64 v[8:9], v[8:9], -0.5, v[42:43]
	v_fma_f64 v[18:19], v[10:11], -0.5, v[40:41]
	s_delay_alu instid0(VALU_DEP_4) | instskip(NEXT) | instid1(VALU_DEP_3)
	v_add_f64_e32 v[0:1], v[4:5], v[6:7]
	v_fma_f64 v[6:7], v[12:13], s[0:1], v[8:9]
	v_fma_f64 v[10:11], v[12:13], s[8:9], v[8:9]
	s_delay_alu instid0(VALU_DEP_4)
	v_fma_f64 v[8:9], v[16:17], s[0:1], v[18:19]
	v_fma_f64 v[4:5], v[16:17], s[8:9], v[18:19]
	ds_store_b128 v236, v[0:3] offset:5616
	ds_store_b128 v236, v[8:11] offset:11856
	;; [unrolled: 1-line block ×3, first 2 shown]
.LBB0_25:
	s_wait_alu 0xfffe
	s_or_b32 exec_lo, exec_lo, s10
	global_wb scope:SCOPE_SE
	s_wait_dscnt 0x0
	s_barrier_signal -1
	s_barrier_wait -1
	global_inv scope:SCOPE_SE
	ds_load_b128 v[0:3], v236
	ds_load_b128 v[4:7], v236 offset:9360
	ds_load_b128 v[8:11], v236 offset:1872
	;; [unrolled: 1-line block ×3, first 2 shown]
	scratch_load_b64 v[16:17], off, off offset:20 th:TH_LOAD_LU ; 8-byte Folded Reload
	v_mad_co_u64_u32 v[42:43], null, s4, v247, 0
	s_mov_b32 s0, 0x1c01c01c
	s_mov_b32 s1, 0x3f4c01c0
	s_wait_loadcnt 0x0
	v_mov_b32_e32 v84, v16
	ds_load_b128 v[16:19], v236 offset:3744
	ds_load_b128 v[20:23], v236 offset:13104
	;; [unrolled: 1-line block ×6, first 2 shown]
	s_clause 0x1
	scratch_load_b128 v[91:94], off, off offset:44 th:TH_LOAD_LU
	scratch_load_b128 v[87:90], off, off offset:28 th:TH_LOAD_LU
	v_mad_co_u64_u32 v[40:41], null, s6, v84, 0
	scratch_load_b128 v[101:104], off, off offset:108 th:TH_LOAD_LU ; 16-byte Folded Reload
	v_mad_co_u64_u32 v[84:85], null, s7, v84, v[41:42]
	s_movk_i32 s6, 0xe2c0
	s_mov_b32 s7, -1
	s_delay_alu instid0(VALU_DEP_1) | instskip(NEXT) | instid1(VALU_DEP_1)
	v_mov_b32_e32 v41, v84
	v_lshlrev_b64_e32 v[40:41], 4, v[40:41]
	s_delay_alu instid0(VALU_DEP_1) | instskip(SKIP_1) | instid1(VALU_DEP_2)
	v_add_co_u32 v40, vcc_lo, s2, v40
	s_wait_alu 0xfffd
	v_add_co_ci_u32_e32 v41, vcc_lo, s3, v41, vcc_lo
	s_mul_u64 s[2:3], s[4:5], 0x2490
	s_wait_loadcnt_dscnt 0x209
	v_mul_f64_e32 v[44:45], v[93:94], v[2:3]
	v_mul_f64_e32 v[46:47], v[93:94], v[0:1]
	scratch_load_b128 v[93:96], off, off offset:60 th:TH_LOAD_LU ; 16-byte Folded Reload
	s_wait_loadcnt_dscnt 0x208
	v_mul_f64_e32 v[48:49], v[89:90], v[6:7]
	v_mul_f64_e32 v[50:51], v[89:90], v[4:5]
	s_wait_loadcnt_dscnt 0x105
	v_mul_f64_e32 v[60:61], v[103:104], v[18:19]
	v_mul_f64_e32 v[62:63], v[103:104], v[16:17]
	scratch_load_b128 v[103:106], off, off offset:124 th:TH_LOAD_LU ; 16-byte Folded Reload
	v_fma_f64 v[0:1], v[91:92], v[0:1], v[44:45]
	v_fma_f64 v[2:3], v[91:92], v[2:3], -v[46:47]
	v_mad_co_u64_u32 v[85:86], null, s5, v247, v[43:44]
	v_fma_f64 v[4:5], v[87:88], v[4:5], v[48:49]
	v_fma_f64 v[6:7], v[87:88], v[6:7], -v[50:51]
	s_wait_alu 0xfffe
	s_mul_u64 s[4:5], s[4:5], s[6:7]
	v_fma_f64 v[16:17], v[101:102], v[16:17], v[60:61]
	v_fma_f64 v[18:19], v[101:102], v[18:19], -v[62:63]
	v_mov_b32_e32 v43, v85
	s_delay_alu instid0(VALU_DEP_1) | instskip(NEXT) | instid1(VALU_DEP_1)
	v_lshlrev_b64_e32 v[42:43], 4, v[42:43]
	v_add_co_u32 v40, vcc_lo, v40, v42
	s_wait_alu 0xfffd
	s_delay_alu instid0(VALU_DEP_2) | instskip(NEXT) | instid1(VALU_DEP_2)
	v_add_co_ci_u32_e32 v41, vcc_lo, v41, v43, vcc_lo
	v_add_co_u32 v42, vcc_lo, v40, s2
	s_wait_alu 0xfffd
	s_delay_alu instid0(VALU_DEP_2) | instskip(SKIP_1) | instid1(VALU_DEP_2)
	v_add_co_ci_u32_e32 v43, vcc_lo, s3, v41, vcc_lo
	s_wait_alu 0xfffe
	v_add_co_u32 v44, vcc_lo, v42, s4
	s_wait_alu 0xfffd
	s_delay_alu instid0(VALU_DEP_2) | instskip(NEXT) | instid1(VALU_DEP_2)
	v_add_co_ci_u32_e32 v45, vcc_lo, s5, v43, vcc_lo
	v_add_co_u32 v46, vcc_lo, v44, s2
	v_mul_f64_e32 v[0:1], s[0:1], v[0:1]
	v_mul_f64_e32 v[2:3], s[0:1], v[2:3]
	s_wait_alu 0xfffd
	v_add_co_ci_u32_e32 v47, vcc_lo, s3, v45, vcc_lo
	v_mul_f64_e32 v[4:5], s[0:1], v[4:5]
	v_mul_f64_e32 v[6:7], s[0:1], v[6:7]
	v_add_co_u32 v48, vcc_lo, v46, s4
	s_wait_alu 0xfffd
	v_add_co_ci_u32_e32 v49, vcc_lo, s5, v47, vcc_lo
	v_mul_f64_e32 v[16:17], s[0:1], v[16:17]
	v_mul_f64_e32 v[18:19], s[0:1], v[18:19]
	v_add_co_u32 v50, vcc_lo, v48, s2
	s_wait_alu 0xfffd
	v_add_co_ci_u32_e32 v51, vcc_lo, s3, v49, vcc_lo
	s_wait_loadcnt 0x1
	v_mul_f64_e32 v[52:53], v[95:96], v[10:11]
	v_mul_f64_e32 v[54:55], v[95:96], v[8:9]
	scratch_load_b128 v[95:98], off, off offset:76 th:TH_LOAD_LU ; 16-byte Folded Reload
	s_wait_loadcnt_dscnt 0x103
	v_mul_f64_e32 v[68:69], v[105:106], v[26:27]
	v_mul_f64_e32 v[70:71], v[105:106], v[24:25]
	scratch_load_b128 v[105:108], off, off offset:140 th:TH_LOAD_LU ; 16-byte Folded Reload
	v_fma_f64 v[8:9], v[93:94], v[8:9], v[52:53]
	v_fma_f64 v[10:11], v[93:94], v[10:11], -v[54:55]
	v_add_co_u32 v52, vcc_lo, v50, s4
	s_wait_alu 0xfffd
	v_add_co_ci_u32_e32 v53, vcc_lo, s5, v51, vcc_lo
	v_fma_f64 v[24:25], v[103:104], v[24:25], v[68:69]
	v_fma_f64 v[26:27], v[103:104], v[26:27], -v[70:71]
	v_add_co_u32 v54, vcc_lo, v52, s2
	s_wait_alu 0xfffd
	v_add_co_ci_u32_e32 v55, vcc_lo, s3, v53, vcc_lo
	v_mul_f64_e32 v[8:9], s[0:1], v[8:9]
	v_mul_f64_e32 v[10:11], s[0:1], v[10:11]
	;; [unrolled: 1-line block ×4, first 2 shown]
	s_wait_loadcnt 0x1
	v_mul_f64_e32 v[56:57], v[97:98], v[14:15]
	v_mul_f64_e32 v[58:59], v[97:98], v[12:13]
	scratch_load_b128 v[97:100], off, off offset:92 th:TH_LOAD_LU ; 16-byte Folded Reload
	s_wait_loadcnt_dscnt 0x102
	v_mul_f64_e32 v[72:73], v[107:108], v[30:31]
	v_mul_f64_e32 v[74:75], v[107:108], v[28:29]
	scratch_load_b128 v[107:110], off, off offset:156 th:TH_LOAD_LU ; 16-byte Folded Reload
	v_fma_f64 v[12:13], v[95:96], v[12:13], v[56:57]
	v_fma_f64 v[14:15], v[95:96], v[14:15], -v[58:59]
	v_fma_f64 v[28:29], v[105:106], v[28:29], v[72:73]
	v_fma_f64 v[30:31], v[105:106], v[30:31], -v[74:75]
	s_delay_alu instid0(VALU_DEP_4) | instskip(NEXT) | instid1(VALU_DEP_4)
	v_mul_f64_e32 v[12:13], s[0:1], v[12:13]
	v_mul_f64_e32 v[14:15], s[0:1], v[14:15]
	s_delay_alu instid0(VALU_DEP_4) | instskip(NEXT) | instid1(VALU_DEP_4)
	v_mul_f64_e32 v[28:29], s[0:1], v[28:29]
	v_mul_f64_e32 v[30:31], s[0:1], v[30:31]
	s_wait_loadcnt 0x1
	v_mul_f64_e32 v[64:65], v[99:100], v[22:23]
	v_mul_f64_e32 v[66:67], v[99:100], v[20:21]
	s_wait_loadcnt_dscnt 0x1
	v_mul_f64_e32 v[76:77], v[109:110], v[34:35]
	v_mul_f64_e32 v[78:79], v[109:110], v[32:33]
	scratch_load_b128 v[109:112], off, off offset:172 th:TH_LOAD_LU ; 16-byte Folded Reload
	s_clause 0x3
	global_store_b128 v[40:41], v[0:3], off
	global_store_b128 v[42:43], v[4:7], off
	;; [unrolled: 1-line block ×4, first 2 shown]
	v_add_co_u32 v0, vcc_lo, v54, s4
	global_store_b128 v[48:49], v[16:19], off
	s_wait_alu 0xfffd
	v_add_co_ci_u32_e32 v1, vcc_lo, s5, v55, vcc_lo
	v_add_co_u32 v2, vcc_lo, v0, s2
	s_wait_alu 0xfffd
	s_delay_alu instid0(VALU_DEP_2) | instskip(SKIP_4) | instid1(VALU_DEP_4)
	v_add_co_ci_u32_e32 v3, vcc_lo, s3, v1, vcc_lo
	v_fma_f64 v[20:21], v[97:98], v[20:21], v[64:65]
	v_fma_f64 v[22:23], v[97:98], v[22:23], -v[66:67]
	v_fma_f64 v[32:33], v[107:108], v[32:33], v[76:77]
	v_fma_f64 v[34:35], v[107:108], v[34:35], -v[78:79]
	v_mul_f64_e32 v[20:21], s[0:1], v[20:21]
	s_delay_alu instid0(VALU_DEP_4) | instskip(NEXT) | instid1(VALU_DEP_4)
	v_mul_f64_e32 v[22:23], s[0:1], v[22:23]
	v_mul_f64_e32 v[32:33], s[0:1], v[32:33]
	s_delay_alu instid0(VALU_DEP_4) | instskip(SKIP_3) | instid1(VALU_DEP_2)
	v_mul_f64_e32 v[34:35], s[0:1], v[34:35]
	s_wait_loadcnt_dscnt 0x0
	v_mul_f64_e32 v[80:81], v[111:112], v[38:39]
	v_mul_f64_e32 v[82:83], v[111:112], v[36:37]
	v_fma_f64 v[36:37], v[109:110], v[36:37], v[80:81]
	s_delay_alu instid0(VALU_DEP_2) | instskip(NEXT) | instid1(VALU_DEP_2)
	v_fma_f64 v[38:39], v[109:110], v[38:39], -v[82:83]
	v_mul_f64_e32 v[36:37], s[0:1], v[36:37]
	s_delay_alu instid0(VALU_DEP_2)
	v_mul_f64_e32 v[38:39], s[0:1], v[38:39]
	global_store_b128 v[50:51], v[20:23], off
	global_store_b128 v[52:53], v[24:27], off
	global_store_b128 v[54:55], v[28:31], off
	global_store_b128 v[0:1], v[32:35], off
	global_store_b128 v[2:3], v[36:39], off
.LBB0_26:
	s_nop 0
	s_sendmsg sendmsg(MSG_DEALLOC_VGPRS)
	s_endpgm
	.section	.rodata,"a",@progbits
	.p2align	6, 0x0
	.amdhsa_kernel bluestein_single_back_len1170_dim1_dp_op_CI_CI
		.amdhsa_group_segment_fixed_size 18720
		.amdhsa_private_segment_fixed_size 496
		.amdhsa_kernarg_size 104
		.amdhsa_user_sgpr_count 2
		.amdhsa_user_sgpr_dispatch_ptr 0
		.amdhsa_user_sgpr_queue_ptr 0
		.amdhsa_user_sgpr_kernarg_segment_ptr 1
		.amdhsa_user_sgpr_dispatch_id 0
		.amdhsa_user_sgpr_private_segment_size 0
		.amdhsa_wavefront_size32 1
		.amdhsa_uses_dynamic_stack 0
		.amdhsa_enable_private_segment 1
		.amdhsa_system_sgpr_workgroup_id_x 1
		.amdhsa_system_sgpr_workgroup_id_y 0
		.amdhsa_system_sgpr_workgroup_id_z 0
		.amdhsa_system_sgpr_workgroup_info 0
		.amdhsa_system_vgpr_workitem_id 0
		.amdhsa_next_free_vgpr 256
		.amdhsa_next_free_sgpr 50
		.amdhsa_reserve_vcc 1
		.amdhsa_float_round_mode_32 0
		.amdhsa_float_round_mode_16_64 0
		.amdhsa_float_denorm_mode_32 3
		.amdhsa_float_denorm_mode_16_64 3
		.amdhsa_fp16_overflow 0
		.amdhsa_workgroup_processor_mode 1
		.amdhsa_memory_ordered 1
		.amdhsa_forward_progress 0
		.amdhsa_round_robin_scheduling 0
		.amdhsa_exception_fp_ieee_invalid_op 0
		.amdhsa_exception_fp_denorm_src 0
		.amdhsa_exception_fp_ieee_div_zero 0
		.amdhsa_exception_fp_ieee_overflow 0
		.amdhsa_exception_fp_ieee_underflow 0
		.amdhsa_exception_fp_ieee_inexact 0
		.amdhsa_exception_int_div_zero 0
	.end_amdhsa_kernel
	.text
.Lfunc_end0:
	.size	bluestein_single_back_len1170_dim1_dp_op_CI_CI, .Lfunc_end0-bluestein_single_back_len1170_dim1_dp_op_CI_CI
                                        ; -- End function
	.section	.AMDGPU.csdata,"",@progbits
; Kernel info:
; codeLenInByte = 20848
; NumSgprs: 52
; NumVgprs: 256
; ScratchSize: 496
; MemoryBound: 0
; FloatMode: 240
; IeeeMode: 1
; LDSByteSize: 18720 bytes/workgroup (compile time only)
; SGPRBlocks: 6
; VGPRBlocks: 31
; NumSGPRsForWavesPerEU: 52
; NumVGPRsForWavesPerEU: 256
; Occupancy: 5
; WaveLimiterHint : 1
; COMPUTE_PGM_RSRC2:SCRATCH_EN: 1
; COMPUTE_PGM_RSRC2:USER_SGPR: 2
; COMPUTE_PGM_RSRC2:TRAP_HANDLER: 0
; COMPUTE_PGM_RSRC2:TGID_X_EN: 1
; COMPUTE_PGM_RSRC2:TGID_Y_EN: 0
; COMPUTE_PGM_RSRC2:TGID_Z_EN: 0
; COMPUTE_PGM_RSRC2:TIDIG_COMP_CNT: 0
	.text
	.p2alignl 7, 3214868480
	.fill 96, 4, 3214868480
	.type	__hip_cuid_3d53e05e475a04e5,@object ; @__hip_cuid_3d53e05e475a04e5
	.section	.bss,"aw",@nobits
	.globl	__hip_cuid_3d53e05e475a04e5
__hip_cuid_3d53e05e475a04e5:
	.byte	0                               ; 0x0
	.size	__hip_cuid_3d53e05e475a04e5, 1

	.ident	"AMD clang version 19.0.0git (https://github.com/RadeonOpenCompute/llvm-project roc-6.4.0 25133 c7fe45cf4b819c5991fe208aaa96edf142730f1d)"
	.section	".note.GNU-stack","",@progbits
	.addrsig
	.addrsig_sym __hip_cuid_3d53e05e475a04e5
	.amdgpu_metadata
---
amdhsa.kernels:
  - .args:
      - .actual_access:  read_only
        .address_space:  global
        .offset:         0
        .size:           8
        .value_kind:     global_buffer
      - .actual_access:  read_only
        .address_space:  global
        .offset:         8
        .size:           8
        .value_kind:     global_buffer
      - .actual_access:  read_only
        .address_space:  global
        .offset:         16
        .size:           8
        .value_kind:     global_buffer
      - .actual_access:  read_only
        .address_space:  global
        .offset:         24
        .size:           8
        .value_kind:     global_buffer
      - .actual_access:  read_only
        .address_space:  global
        .offset:         32
        .size:           8
        .value_kind:     global_buffer
      - .offset:         40
        .size:           8
        .value_kind:     by_value
      - .address_space:  global
        .offset:         48
        .size:           8
        .value_kind:     global_buffer
      - .address_space:  global
        .offset:         56
        .size:           8
        .value_kind:     global_buffer
      - .address_space:  global
        .offset:         64
        .size:           8
        .value_kind:     global_buffer
      - .address_space:  global
        .offset:         72
        .size:           8
        .value_kind:     global_buffer
      - .offset:         80
        .size:           4
        .value_kind:     by_value
      - .address_space:  global
        .offset:         88
        .size:           8
        .value_kind:     global_buffer
      - .address_space:  global
        .offset:         96
        .size:           8
        .value_kind:     global_buffer
    .group_segment_fixed_size: 18720
    .kernarg_segment_align: 8
    .kernarg_segment_size: 104
    .language:       OpenCL C
    .language_version:
      - 2
      - 0
    .max_flat_workgroup_size: 117
    .name:           bluestein_single_back_len1170_dim1_dp_op_CI_CI
    .private_segment_fixed_size: 496
    .sgpr_count:     52
    .sgpr_spill_count: 0
    .symbol:         bluestein_single_back_len1170_dim1_dp_op_CI_CI.kd
    .uniform_work_group_size: 1
    .uses_dynamic_stack: false
    .vgpr_count:     256
    .vgpr_spill_count: 160
    .wavefront_size: 32
    .workgroup_processor_mode: 1
amdhsa.target:   amdgcn-amd-amdhsa--gfx1201
amdhsa.version:
  - 1
  - 2
...

	.end_amdgpu_metadata
